;; amdgpu-corpus repo=ROCm/rocFFT kind=compiled arch=gfx950 opt=O3
	.text
	.amdgcn_target "amdgcn-amd-amdhsa--gfx950"
	.amdhsa_code_object_version 6
	.protected	fft_rtc_fwd_len1428_factors_17_2_7_6_wgs_119_tpt_119_halfLds_sp_op_CI_CI_unitstride_sbrr_dirReg ; -- Begin function fft_rtc_fwd_len1428_factors_17_2_7_6_wgs_119_tpt_119_halfLds_sp_op_CI_CI_unitstride_sbrr_dirReg
	.globl	fft_rtc_fwd_len1428_factors_17_2_7_6_wgs_119_tpt_119_halfLds_sp_op_CI_CI_unitstride_sbrr_dirReg
	.p2align	8
	.type	fft_rtc_fwd_len1428_factors_17_2_7_6_wgs_119_tpt_119_halfLds_sp_op_CI_CI_unitstride_sbrr_dirReg,@function
fft_rtc_fwd_len1428_factors_17_2_7_6_wgs_119_tpt_119_halfLds_sp_op_CI_CI_unitstride_sbrr_dirReg: ; @fft_rtc_fwd_len1428_factors_17_2_7_6_wgs_119_tpt_119_halfLds_sp_op_CI_CI_unitstride_sbrr_dirReg
; %bb.0:
	s_load_dwordx4 s[8:11], s[0:1], 0x58
	s_load_dwordx4 s[4:7], s[0:1], 0x0
	;; [unrolled: 1-line block ×3, first 2 shown]
	v_mul_u32_u24_e32 v1, 0x227, v0
	v_add_u32_sdwa v10, s2, v1 dst_sel:DWORD dst_unused:UNUSED_PAD src0_sel:DWORD src1_sel:WORD_1
	v_mov_b32_e32 v8, 0
	s_waitcnt lgkmcnt(0)
	v_cmp_lt_u64_e64 s[2:3], s[6:7], 2
	v_mov_b32_e32 v11, v8
	s_and_b64 vcc, exec, s[2:3]
	v_mov_b64_e32 v[6:7], 0
	s_cbranch_vccnz .LBB0_8
; %bb.1:
	s_load_dwordx2 s[2:3], s[0:1], 0x10
	s_add_u32 s16, s14, 8
	s_addc_u32 s17, s15, 0
	s_add_u32 s18, s12, 8
	s_addc_u32 s19, s13, 0
	s_waitcnt lgkmcnt(0)
	s_add_u32 s20, s2, 8
	v_mov_b64_e32 v[6:7], 0
	s_addc_u32 s21, s3, 0
	s_mov_b64 s[22:23], 1
	v_mov_b64_e32 v[2:3], v[6:7]
.LBB0_2:                                ; =>This Inner Loop Header: Depth=1
	s_load_dwordx2 s[24:25], s[20:21], 0x0
                                        ; implicit-def: $vgpr4_vgpr5
	s_waitcnt lgkmcnt(0)
	v_or_b32_e32 v9, s25, v11
	v_cmp_ne_u64_e32 vcc, 0, v[8:9]
	s_and_saveexec_b64 s[2:3], vcc
	s_xor_b64 s[26:27], exec, s[2:3]
	s_cbranch_execz .LBB0_4
; %bb.3:                                ;   in Loop: Header=BB0_2 Depth=1
	v_cvt_f32_u32_e32 v1, s24
	v_cvt_f32_u32_e32 v4, s25
	s_sub_u32 s2, 0, s24
	s_subb_u32 s3, 0, s25
	v_fmac_f32_e32 v1, 0x4f800000, v4
	v_rcp_f32_e32 v1, v1
	s_nop 0
	v_mul_f32_e32 v1, 0x5f7ffffc, v1
	v_mul_f32_e32 v4, 0x2f800000, v1
	v_trunc_f32_e32 v4, v4
	v_fmac_f32_e32 v1, 0xcf800000, v4
	v_cvt_u32_f32_e32 v9, v4
	v_cvt_u32_f32_e32 v1, v1
	v_mul_lo_u32 v4, s2, v9
	v_mul_hi_u32 v12, s2, v1
	v_mul_lo_u32 v5, s3, v1
	v_add_u32_e32 v12, v12, v4
	v_mul_lo_u32 v14, s2, v1
	v_add_u32_e32 v15, v12, v5
	v_mul_hi_u32 v4, v1, v14
	v_mul_hi_u32 v13, v1, v15
	v_mul_lo_u32 v12, v1, v15
	v_mov_b32_e32 v5, v8
	v_lshl_add_u64 v[4:5], v[4:5], 0, v[12:13]
	v_mul_hi_u32 v13, v9, v14
	v_mul_lo_u32 v14, v9, v14
	v_add_co_u32_e32 v4, vcc, v4, v14
	v_mul_hi_u32 v12, v9, v15
	s_nop 0
	v_addc_co_u32_e32 v4, vcc, v5, v13, vcc
	v_mov_b32_e32 v5, v8
	s_nop 0
	v_addc_co_u32_e32 v13, vcc, 0, v12, vcc
	v_mul_lo_u32 v12, v9, v15
	v_lshl_add_u64 v[4:5], v[4:5], 0, v[12:13]
	v_add_co_u32_e32 v1, vcc, v1, v4
	v_mul_lo_u32 v12, s2, v1
	s_nop 0
	v_addc_co_u32_e32 v9, vcc, v9, v5, vcc
	v_mul_lo_u32 v4, s2, v9
	v_mul_hi_u32 v5, s2, v1
	v_add_u32_e32 v4, v5, v4
	v_mul_lo_u32 v5, s3, v1
	v_add_u32_e32 v14, v4, v5
	v_mul_hi_u32 v16, v9, v12
	v_mul_lo_u32 v17, v9, v12
	v_mul_hi_u32 v5, v1, v14
	v_mul_lo_u32 v4, v1, v14
	v_mul_hi_u32 v12, v1, v12
	v_mov_b32_e32 v13, v8
	v_lshl_add_u64 v[4:5], v[12:13], 0, v[4:5]
	v_add_co_u32_e32 v4, vcc, v4, v17
	v_mul_hi_u32 v15, v9, v14
	s_nop 0
	v_addc_co_u32_e32 v4, vcc, v5, v16, vcc
	v_mul_lo_u32 v12, v9, v14
	s_nop 0
	v_addc_co_u32_e32 v13, vcc, 0, v15, vcc
	v_mov_b32_e32 v5, v8
	v_lshl_add_u64 v[4:5], v[4:5], 0, v[12:13]
	v_add_co_u32_e32 v1, vcc, v1, v4
	v_mul_hi_u32 v12, v10, v1
	s_nop 0
	v_addc_co_u32_e32 v9, vcc, v9, v5, vcc
	v_mad_u64_u32 v[4:5], s[2:3], v10, v9, 0
	v_mov_b32_e32 v13, v8
	v_lshl_add_u64 v[4:5], v[12:13], 0, v[4:5]
	v_mad_u64_u32 v[14:15], s[2:3], v11, v1, 0
	v_add_co_u32_e32 v1, vcc, v4, v14
	v_mad_u64_u32 v[12:13], s[2:3], v11, v9, 0
	s_nop 0
	v_addc_co_u32_e32 v4, vcc, v5, v15, vcc
	v_mov_b32_e32 v5, v8
	s_nop 0
	v_addc_co_u32_e32 v13, vcc, 0, v13, vcc
	v_lshl_add_u64 v[4:5], v[4:5], 0, v[12:13]
	v_mul_lo_u32 v1, s25, v4
	v_mul_lo_u32 v9, s24, v5
	v_mad_u64_u32 v[12:13], s[2:3], s24, v4, 0
	v_add3_u32 v1, v13, v9, v1
	v_sub_u32_e32 v9, v11, v1
	v_mov_b32_e32 v13, s25
	v_sub_co_u32_e32 v16, vcc, v10, v12
	v_lshl_add_u64 v[14:15], v[4:5], 0, 1
	s_nop 0
	v_subb_co_u32_e64 v9, s[2:3], v9, v13, vcc
	v_subrev_co_u32_e64 v12, s[2:3], s24, v16
	v_subb_co_u32_e32 v1, vcc, v11, v1, vcc
	s_nop 0
	v_subbrev_co_u32_e64 v9, s[2:3], 0, v9, s[2:3]
	v_cmp_le_u32_e64 s[2:3], s25, v9
	v_cmp_le_u32_e32 vcc, s25, v1
	s_nop 0
	v_cndmask_b32_e64 v13, 0, -1, s[2:3]
	v_cmp_le_u32_e64 s[2:3], s24, v12
	s_nop 1
	v_cndmask_b32_e64 v12, 0, -1, s[2:3]
	v_cmp_eq_u32_e64 s[2:3], s25, v9
	s_nop 1
	v_cndmask_b32_e64 v9, v13, v12, s[2:3]
	v_lshl_add_u64 v[12:13], v[4:5], 0, 2
	v_cmp_ne_u32_e64 s[2:3], 0, v9
	s_nop 1
	v_cndmask_b32_e64 v9, v15, v13, s[2:3]
	v_cndmask_b32_e64 v13, 0, -1, vcc
	v_cmp_le_u32_e32 vcc, s24, v16
	s_nop 1
	v_cndmask_b32_e64 v15, 0, -1, vcc
	v_cmp_eq_u32_e32 vcc, s25, v1
	s_nop 1
	v_cndmask_b32_e32 v1, v13, v15, vcc
	v_cmp_ne_u32_e32 vcc, 0, v1
	v_cndmask_b32_e64 v1, v14, v12, s[2:3]
	s_nop 0
	v_cndmask_b32_e32 v5, v5, v9, vcc
	v_cndmask_b32_e32 v4, v4, v1, vcc
.LBB0_4:                                ;   in Loop: Header=BB0_2 Depth=1
	s_andn2_saveexec_b64 s[2:3], s[26:27]
	s_cbranch_execz .LBB0_6
; %bb.5:                                ;   in Loop: Header=BB0_2 Depth=1
	v_cvt_f32_u32_e32 v1, s24
	s_sub_i32 s26, 0, s24
	v_rcp_iflag_f32_e32 v1, v1
	s_nop 0
	v_mul_f32_e32 v1, 0x4f7ffffe, v1
	v_cvt_u32_f32_e32 v1, v1
	v_mul_lo_u32 v4, s26, v1
	v_mul_hi_u32 v4, v1, v4
	v_add_u32_e32 v1, v1, v4
	v_mul_hi_u32 v1, v10, v1
	v_mul_lo_u32 v4, v1, s24
	v_sub_u32_e32 v4, v10, v4
	v_add_u32_e32 v5, 1, v1
	v_subrev_u32_e32 v9, s24, v4
	v_cmp_le_u32_e32 vcc, s24, v4
	s_nop 1
	v_cndmask_b32_e32 v4, v4, v9, vcc
	v_cndmask_b32_e32 v1, v1, v5, vcc
	v_add_u32_e32 v5, 1, v1
	v_cmp_le_u32_e32 vcc, s24, v4
	s_nop 1
	v_cndmask_b32_e32 v4, v1, v5, vcc
	v_mov_b32_e32 v5, v8
.LBB0_6:                                ;   in Loop: Header=BB0_2 Depth=1
	s_or_b64 exec, exec, s[2:3]
	v_mad_u64_u32 v[12:13], s[2:3], v4, s24, 0
	s_load_dwordx2 s[2:3], s[18:19], 0x0
	v_mul_lo_u32 v1, v5, s24
	v_mul_lo_u32 v9, v4, s25
	s_load_dwordx2 s[24:25], s[16:17], 0x0
	s_add_u32 s22, s22, 1
	v_add3_u32 v1, v13, v9, v1
	v_sub_co_u32_e32 v9, vcc, v10, v12
	s_addc_u32 s23, s23, 0
	s_nop 0
	v_subb_co_u32_e32 v1, vcc, v11, v1, vcc
	s_add_u32 s16, s16, 8
	s_waitcnt lgkmcnt(0)
	v_mul_lo_u32 v10, s2, v1
	v_mul_lo_u32 v11, s3, v9
	v_mad_u64_u32 v[6:7], s[2:3], s2, v9, v[6:7]
	s_addc_u32 s17, s17, 0
	v_add3_u32 v7, v11, v7, v10
	v_mul_lo_u32 v1, s24, v1
	v_mul_lo_u32 v10, s25, v9
	v_mad_u64_u32 v[2:3], s[2:3], s24, v9, v[2:3]
	s_add_u32 s18, s18, 8
	v_add3_u32 v3, v10, v3, v1
	s_addc_u32 s19, s19, 0
	v_mov_b64_e32 v[10:11], s[6:7]
	s_add_u32 s20, s20, 8
	v_cmp_ge_u64_e32 vcc, s[22:23], v[10:11]
	s_addc_u32 s21, s21, 0
	s_cbranch_vccnz .LBB0_9
; %bb.7:                                ;   in Loop: Header=BB0_2 Depth=1
	v_mov_b64_e32 v[10:11], v[4:5]
	s_branch .LBB0_2
.LBB0_8:
	v_mov_b64_e32 v[2:3], v[6:7]
	v_mov_b64_e32 v[4:5], v[10:11]
.LBB0_9:
	s_load_dwordx2 s[0:1], s[0:1], 0x28
	s_mov_b32 s16, 0x226b903
	v_mul_hi_u32 v1, v0, s16
	v_mul_u32_u24_e32 v1, 0x77, v1
	s_lshl_b64 s[2:3], s[6:7], 3
	s_waitcnt lgkmcnt(0)
	v_cmp_gt_u64_e32 vcc, s[0:1], v[4:5]
	v_sub_u32_e32 v0, v0, v1
	s_movk_i32 s0, 0x54
	s_add_u32 s6, s14, s2
	v_cmp_gt_u32_e64 s[0:1], s0, v0
	v_mov_b32_e32 v19, 0
	s_addc_u32 s7, s15, s3
	s_and_b64 s[16:17], vcc, s[0:1]
	v_mov_b32_e32 v42, v19
                                        ; implicit-def: $vgpr52
                                        ; implicit-def: $vgpr14
                                        ; implicit-def: $vgpr22
                                        ; implicit-def: $vgpr12
                                        ; implicit-def: $vgpr36
                                        ; implicit-def: $vgpr20
                                        ; implicit-def: $vgpr40
                                        ; implicit-def: $vgpr24
                                        ; implicit-def: $vgpr44
                                        ; implicit-def: $vgpr26
                                        ; implicit-def: $vgpr50
                                        ; implicit-def: $vgpr28
                                        ; implicit-def: $vgpr46
                                        ; implicit-def: $vgpr10
                                        ; implicit-def: $vgpr48
                                        ; implicit-def: $vgpr8
	s_and_saveexec_b64 s[14:15], s[16:17]
	s_cbranch_execz .LBB0_11
; %bb.10:
	s_add_u32 s2, s12, s2
	s_addc_u32 s3, s13, s3
	s_load_dwordx2 s[2:3], s[2:3], 0x0
	v_mov_b32_e32 v1, 0
	s_waitcnt lgkmcnt(0)
	v_mul_lo_u32 v10, s3, v4
	v_mul_lo_u32 v11, s2, v5
	v_mad_u64_u32 v[8:9], s[2:3], s2, v4, 0
	v_add3_u32 v9, v9, v11, v10
	v_lshl_add_u64 v[8:9], v[8:9], 3, s[8:9]
	v_lshl_add_u64 v[6:7], v[6:7], 3, v[8:9]
	;; [unrolled: 1-line block ×3, first 2 shown]
	s_movk_i32 s2, 0x1000
	v_add_co_u32_e64 v16, s[2:3], s2, v6
	global_load_dwordx2 v[42:43], v[6:7], off
	s_nop 0
	v_addc_co_u32_e64 v17, s[2:3], 0, v7, s[2:3]
	s_movk_i32 s2, 0x2000
	s_nop 0
	v_add_co_u32_e64 v18, s[2:3], s2, v6
	global_load_dwordx2 v[14:15], v[16:17], off offset:1280
	global_load_dwordx2 v[52:53], v[16:17], off offset:1952
	;; [unrolled: 1-line block ×8, first 2 shown]
	v_addc_co_u32_e64 v19, s[2:3], 0, v7, s[2:3]
	global_load_dwordx2 v[24:25], v[16:17], off offset:3968
	global_load_dwordx2 v[26:27], v[18:19], off offset:544
	;; [unrolled: 1-line block ×8, first 2 shown]
	s_waitcnt vmcnt(14)
	v_mov_b32_e32 v18, v53
	v_mov_b32_e32 v19, v43
.LBB0_11:
	s_or_b64 exec, exec, s[14:15]
	s_mov_b32 s12, 0xbe8c1d8e
	s_waitcnt vmcnt(0)
	v_pk_add_f32 v[64:65], v[48:49], v[8:9]
	s_mov_b32 s13, 0x3dbcf732
	s_mov_b32 s24, 0xbf763a35
	;; [unrolled: 1-line block ×3, first 2 shown]
	v_pk_add_f32 v[62:63], v[48:49], v[8:9] neg_lo:[0,1] neg_hi:[0,1]
	v_pk_add_f32 v[60:61], v[46:47], v[10:11]
	v_pk_mul_f32 v[76:77], v[64:65], s[12:13] op_sel_hi:[0,1]
	s_mov_b32 s25, 0xbf7ee86f
	s_mov_b32 s17, 0xbf7ba420
	;; [unrolled: 1-line block ×3, first 2 shown]
	v_pk_add_f32 v[16:17], v[46:47], v[10:11] neg_lo:[0,1] neg_hi:[0,1]
	v_pk_add_f32 v[58:59], v[50:51], v[28:29]
	v_pk_fma_f32 v[6:7], v[62:63], s[24:25], v[76:77] op_sel:[1,0,0]
	v_pk_mul_f32 v[78:79], v[60:61], s[16:17] op_sel_hi:[0,1]
	s_mov_b32 s27, 0xbe3c28d5
	s_mov_b32 s18, 0x3f3d2fb0
	;; [unrolled: 1-line block ×5, first 2 shown]
	v_pk_add_f32 v[56:57], v[50:51], v[28:29] neg_lo:[0,1] neg_hi:[0,1]
	v_pk_add_f32 v[54:55], v[44:45], v[26:27]
	v_pk_add_f32 v[6:7], v[42:43], v[6:7] op_sel_hi:[0,1]
	v_pk_fma_f32 v[30:31], v[16:17], s[26:27], v[78:79] op_sel:[1,0,0]
	v_pk_mul_f32 v[80:81], v[58:59], s[18:19] op_sel_hi:[0,1]
	s_mov_b32 s29, 0x3f763a35
	s_mov_b32 s21, 0x3f6eb680
	;; [unrolled: 1-line block ×3, first 2 shown]
	v_pk_add_f32 v[6:7], v[6:7], v[30:31]
	v_pk_fma_f32 v[30:31], v[56:57], s[28:29], v[80:81] op_sel:[1,0,0]
	v_pk_add_f32 v[66:67], v[44:45], v[26:27] neg_lo:[0,1] neg_hi:[0,1]
	s_mov_b32 s31, 0x3eb8f4ab
	v_pk_mul_f32 v[82:83], v[54:55], s[20:21] op_sel_hi:[0,1]
	s_mov_b32 s22, s17
	s_mov_b32 s23, s20
	v_pk_add_f32 v[74:75], v[40:41], v[24:25]
	v_pk_add_f32 v[6:7], v[6:7], v[30:31]
	v_pk_fma_f32 v[30:31], v[66:67], s[30:31], v[82:83] op_sel:[1,0,0]
	s_mov_b32 s34, s27
	s_mov_b32 s35, s30
	v_pk_add_f32 v[68:69], v[40:41], v[24:25] neg_lo:[0,1] neg_hi:[0,1]
	v_pk_mul_f32 v[84:85], v[74:75], s[22:23] op_sel_hi:[0,1]
	s_mov_b32 s8, s13
	s_mov_b32 s9, s16
	;; [unrolled: 1-line block ×3, first 2 shown]
	v_pk_add_f32 v[72:73], v[36:37], v[20:21]
	v_pk_add_f32 v[6:7], v[6:7], v[30:31]
	v_pk_fma_f32 v[30:31], v[68:69], s[34:35], v[84:85] op_sel:[1,0,0]
	s_mov_b32 s37, 0xbf06c442
	v_pk_add_f32 v[70:71], v[36:37], v[20:21] neg_lo:[0,1] neg_hi:[0,1]
	v_pk_mul_f32 v[86:87], v[72:73], s[8:9] op_sel_hi:[0,1]
	s_mov_b32 s3, 0xbf1a4643
	s_mov_b32 s2, s21
	;; [unrolled: 1-line block ×3, first 2 shown]
	v_pk_add_f32 v[38:39], v[22:23], v[12:13]
	v_pk_add_f32 v[6:7], v[6:7], v[30:31]
	v_pk_fma_f32 v[30:31], v[70:71], s[36:37], v[86:87] op_sel:[1,0,0]
	s_mov_b32 s39, 0x3f4c4adb
	v_pk_add_f32 v[34:35], v[22:23], v[12:13] neg_lo:[0,1] neg_hi:[0,1]
	v_pk_mul_f32 v[88:89], v[38:39], s[2:3] op_sel_hi:[0,1]
	v_pk_add_f32 v[6:7], v[30:31], v[6:7]
	v_pk_fma_f32 v[30:31], v[34:35], s[38:39], v[88:89] op_sel:[1,0,0]
	v_mov_b32_e32 v53, v18
	v_pk_add_f32 v[6:7], v[30:31], v[6:7]
	s_mov_b32 s14, s3
	s_mov_b32 s15, s18
	v_pk_add_f32 v[30:31], v[14:15], v[52:53]
	s_mov_b32 s40, 0xbf4c4adb
	s_mov_b32 s41, s28
	v_pk_add_f32 v[32:33], v[14:15], v[52:53] neg_lo:[0,1] neg_hi:[0,1]
	v_pk_mul_f32 v[90:91], v[30:31], s[14:15] op_sel_hi:[0,1]
	v_pk_fma_f32 v[92:93], v[32:33], s[40:41], v[90:91] op_sel:[1,0,0]
	s_nop 0
	v_pk_add_f32 v[6:7], v[92:93], v[6:7]
	s_and_saveexec_b64 s[42:43], s[0:1]
	s_cbranch_execz .LBB0_13
; %bb.12:
	v_pk_mul_f32 v[92:93], v[62:63], s[24:25] op_sel:[1,0]
	v_mov_b32_e32 v43, v42
	v_pk_mul_f32 v[94:95], v[16:17], s[26:27] op_sel:[1,0]
	v_pk_add_f32 v[76:77], v[76:77], v[92:93] neg_lo:[0,1] neg_hi:[0,1]
	v_pk_mul_f32 v[96:97], v[56:57], s[28:29] op_sel:[1,0]
	v_pk_add_f32 v[78:79], v[78:79], v[94:95] neg_lo:[0,1] neg_hi:[0,1]
	v_pk_add_f32 v[76:77], v[42:43], v[76:77]
	v_pk_mul_f32 v[92:93], v[66:67], s[30:31] op_sel:[1,0]
	v_pk_add_f32 v[76:77], v[76:77], v[78:79]
	v_pk_add_f32 v[80:81], v[80:81], v[96:97] neg_lo:[0,1] neg_hi:[0,1]
	v_pk_mul_f32 v[94:95], v[68:69], s[34:35] op_sel:[1,0]
	v_pk_mul_f32 v[78:79], v[70:71], s[36:37] op_sel:[1,0]
	v_pk_add_f32 v[76:77], v[76:77], v[80:81]
	v_pk_add_f32 v[80:81], v[82:83], v[92:93] neg_lo:[0,1] neg_hi:[0,1]
	v_pk_add_f32 v[78:79], v[86:87], v[78:79] neg_lo:[0,1] neg_hi:[0,1]
	v_pk_add_f32 v[76:77], v[76:77], v[80:81]
	v_pk_add_f32 v[80:81], v[84:85], v[94:95] neg_lo:[0,1] neg_hi:[0,1]
	v_mov_b32_e32 v86, v42
	v_pk_mul_f32 v[96:97], v[34:35], s[38:39] op_sel:[1,0]
	s_mov_b32 s44, 0xbf2c7751
	v_pk_add_f32 v[76:77], v[76:77], v[80:81]
	v_pk_add_f32 v[86:87], v[86:87], v[48:49]
	v_pk_mul_f32 v[98:99], v[32:33], s[40:41] op_sel:[1,0]
	v_mov_b32_e32 v84, v60
	v_mov_b32_e32 v85, v17
	s_mov_b32 s48, s18
	s_mov_b32 s49, s44
	v_pk_add_f32 v[78:79], v[78:79], v[76:77]
	v_pk_add_f32 v[82:83], v[88:89], v[96:97] neg_lo:[0,1] neg_hi:[0,1]
	v_pk_add_f32 v[86:87], v[86:87], v[46:47]
	v_mov_b32_e32 v100, v38
	v_mov_b32_e32 v101, v35
	v_pk_mul_f32 v[76:77], v[84:85], s[48:49]
	s_mov_b32 s54, s16
	s_mov_b32 s55, s37
	v_pk_add_f32 v[82:83], v[82:83], v[78:79]
	s_movk_i32 s33, 0x44
	v_pk_add_f32 v[88:89], v[90:91], v[98:99] neg_lo:[0,1] neg_hi:[0,1]
	v_pk_add_f32 v[86:87], v[86:87], v[50:51]
	v_mov_b32_e32 v92, v30
	v_mov_b32_e32 v93, v33
	v_pk_mul_f32 v[78:79], v[100:101], s[54:55]
	s_mov_b32 s56, s17
	s_mov_b32 s57, s27
	v_mad_u32_u24 v140, v0, s33, 0
	v_pk_add_f32 v[82:83], v[88:89], v[82:83]
	v_mov_b32_e32 v1, v76
	v_pk_add_f32 v[86:87], v[86:87], v[44:45]
	v_mov_b32_e32 v62, v64
	s_mov_b32 s46, s21
	s_mov_b32 s47, s38
	ds_write2_b32 v140, v83, v82 offset0:4 offset1:5
	v_pk_mul_f32 v[82:83], v[92:93], s[56:57]
	v_pk_fma_f32 v[88:89], v[84:85], s[48:49], v[0:1] neg_lo:[1,0,0] neg_hi:[1,0,0]
	v_mov_b32_e32 v1, v78
	v_pk_add_f32 v[86:87], v[86:87], v[40:41]
	v_pk_mul_f32 v[94:95], v[62:63], s[46:47]
	v_pk_fma_f32 v[90:91], v[100:101], s[54:55], v[0:1] neg_lo:[1,0,0] neg_hi:[1,0,0]
	v_mov_b32_e32 v1, v82
	v_pk_add_f32 v[86:87], v[86:87], v[36:37]
	v_pk_fma_f32 v[92:93], v[92:93], s[56:57], v[0:1] neg_lo:[1,0,0] neg_hi:[1,0,0]
	v_mov_b32_e32 v1, v94
	v_pk_add_f32 v[86:87], v[86:87], v[22:23]
	v_mov_b32_e32 v56, v58
	s_mov_b32 s50, s20
	s_mov_b32 s51, s30
	v_add_f32_e32 v55, v95, v94
	v_pk_fma_f32 v[94:95], v[62:63], s[46:47], v[0:1] neg_lo:[1,0,0] neg_hi:[1,0,0]
	v_pk_add_f32 v[86:87], v[86:87], v[14:15]
	v_mov_b32_e32 v53, v42
	v_pk_mul_f32 v[80:81], v[56:57], s[50:51]
	v_mov_b32_e32 v87, v95
	v_mov_b32_e32 v66, v54
	s_mov_b32 s52, s13
	s_mov_b32 s53, s25
	v_add_f32_e32 v14, v53, v55
	v_pk_add_f32 v[52:53], v[86:87], v[52:53]
	v_mov_b32_e32 v88, v12
	v_mov_b32_e32 v1, v80
	v_pk_mul_f32 v[84:85], v[66:67], s[52:53]
	v_pk_add_f32 v[52:53], v[52:53], v[88:89]
	v_pk_fma_f32 v[88:89], v[56:57], s[50:51], v[0:1] neg_lo:[1,0,0] neg_hi:[1,0,0]
	v_mov_b32_e32 v68, v74
	s_mov_b32 s48, s12
	s_mov_b32 s49, s24
	v_mov_b32_e32 v88, v20
	v_mov_b32_e32 v1, v84
	v_pk_mul_f32 v[94:95], v[68:69], s[48:49]
	v_pk_add_f32 v[52:53], v[52:53], v[88:89]
	v_pk_fma_f32 v[88:89], v[66:67], s[52:53], v[0:1] neg_lo:[1,0,0] neg_hi:[1,0,0]
	v_mov_b32_e32 v70, v72
	s_mov_b32 s46, s3
	s_mov_b32 s47, s40
	v_mov_b32_e32 v88, v24
	v_mov_b32_e32 v1, v94
	v_pk_mul_f32 v[86:87], v[70:71], s[46:47]
	v_pk_add_f32 v[52:53], v[52:53], v[88:89]
	v_pk_fma_f32 v[88:89], v[68:69], s[48:49], v[0:1] neg_lo:[1,0,0] neg_hi:[1,0,0]
	v_mov_b32_e32 v1, v86
	v_mov_b32_e32 v88, v26
	v_pk_add_f32 v[52:53], v[88:89], v[52:53]
	v_pk_fma_f32 v[88:89], v[70:71], s[46:47], v[0:1] neg_lo:[1,0,0] neg_hi:[1,0,0]
	v_mov_b32_e32 v90, v10
	v_mov_b32_e32 v88, v28
	v_pk_add_f32 v[52:53], v[88:89], v[52:53]
	v_mov_b32_e32 v65, v64
	v_pk_add_f32 v[52:53], v[90:91], v[52:53]
	s_mov_b32 s46, s18
	s_mov_b32 s47, s20
	v_mov_b32_e32 v92, v8
	v_mov_b32_e32 v88, v63
	;; [unrolled: 1-line block ×4, first 2 shown]
	v_pk_add_f32 v[52:53], v[92:93], v[52:53]
	v_pk_mul_f32 v[92:93], v[64:65], s[46:47]
	s_mov_b32 s46, s44
	s_mov_b32 s47, s30
	;; [unrolled: 1-line block ×4, first 2 shown]
	v_mov_b32_e32 v90, v17
	v_mov_b32_e32 v91, v17
	s_mov_b32 s48, s25
	s_mov_b32 s49, s40
	ds_write2_b32 v140, v52, v53 offset1:1
	v_pk_fma_f32 v[52:53], v[88:89], s[46:47], v[92:93] neg_lo:[1,0,0] neg_hi:[1,0,0]
	v_pk_mul_f32 v[96:97], v[60:61], s[50:51]
	v_pk_add_f32 v[52:53], v[42:43], v[52:53]
	v_pk_fma_f32 v[98:99], v[90:91], s[48:49], v[96:97] neg_lo:[1,0,0] neg_hi:[1,0,0]
	v_mov_b32_e32 v59, v58
	s_mov_b32 s52, s3
	s_mov_b32 s53, s17
	v_pk_add_f32 v[52:53], v[52:53], v[98:99]
	v_mov_b32_e32 v98, v57
	v_mov_b32_e32 v99, v57
	s_mov_b32 s51, 0x3e3c28d5
	s_mov_b32 s50, s40
	v_pk_mul_f32 v[100:101], v[58:59], s[52:53]
	v_mov_b32_e32 v55, v54
	v_pk_fma_f32 v[102:103], v[98:99], s[50:51], v[100:101] neg_lo:[1,0,0] neg_hi:[1,0,0]
	s_mov_b32 s54, s17
	s_mov_b32 s55, s12
	v_pk_add_f32 v[52:53], v[52:53], v[102:103]
	v_mov_b32_e32 v102, v67
	v_mov_b32_e32 v103, v67
	s_mov_b32 s52, s27
	s_mov_b32 s53, s29
	v_pk_mul_f32 v[104:105], v[54:55], s[54:55]
	v_mov_b32_e32 v75, v74
	v_pk_fma_f32 v[106:107], v[102:103], s[52:53], v[104:105] neg_lo:[1,0,0] neg_hi:[1,0,0]
	;; [unrolled: 10-line block ×3, first 2 shown]
	s_mov_b32 s58, s12
	s_mov_b32 s59, s21
	v_pk_add_f32 v[52:53], v[52:53], v[110:111]
	v_mov_b32_e32 v110, v71
	v_mov_b32_e32 v111, v71
	s_mov_b32 s56, s29
	s_mov_b32 s57, s38
	v_pk_mul_f32 v[112:113], v[72:73], s[58:59]
	s_mov_b32 s63, 0x3f65296c
	v_pk_fma_f32 v[114:115], v[110:111], s[56:57], v[112:113] neg_lo:[1,0,0] neg_hi:[1,0,0]
	s_mov_b32 s60, s20
	v_pk_add_f32 v[52:53], v[114:115], v[52:53]
	v_mov_b32_e32 v114, v38
	v_mov_b32_e32 v115, v38
	s_mov_b32 s61, s13
	v_mov_b32_e32 v116, v35
	v_mov_b32_e32 v117, v35
	s_mov_b32 s58, s63
	s_mov_b32 s59, s25
	v_pk_mul_f32 v[118:119], v[114:115], s[60:61]
	s_mov_b32 s64, s21
	v_pk_fma_f32 v[120:121], v[116:117], s[58:59], v[118:119] neg_lo:[1,0,0] neg_hi:[1,0,0]
	s_mov_b32 s65, s16
	v_pk_add_f32 v[52:53], v[120:121], v[52:53]
	v_mov_b32_e32 v120, v30
	v_mov_b32_e32 v121, v30
	;; [unrolled: 1-line block ×4, first 2 shown]
	s_mov_b32 s60, s31
	s_mov_b32 s61, s37
	v_pk_mul_f32 v[124:125], v[120:121], s[64:65]
	s_mov_b32 s66, s3
	v_pk_fma_f32 v[126:127], v[122:123], s[60:61], v[124:125] neg_lo:[1,0,0] neg_hi:[1,0,0]
	s_mov_b32 s67, s16
	v_pk_add_f32 v[52:53], v[126:127], v[52:53]
	ds_write2_b32 v140, v52, v53 offset0:2 offset1:3
	s_mov_b32 s64, s40
	s_mov_b32 s65, s37
	s_mov_b32 s68, s12
	s_mov_b32 s69, s20
	v_pk_mul_f32 v[52:53], v[64:65], s[66:67]
	s_mov_b32 s62, s29
	v_pk_fma_f32 v[126:127], v[88:89], s[64:65], v[52:53] neg_lo:[1,0,0] neg_hi:[1,0,0]
	v_pk_mul_f32 v[128:129], v[60:61], s[68:69]
	v_mul_f32_e32 v10, 0xbf7ba420, v64
	v_mul_f32_e32 v12, 0xbe3c28d5, v63
	v_pk_add_f32 v[126:127], v[42:43], v[126:127]
	v_pk_fma_f32 v[130:131], v[90:91], s[62:63], v[128:129] neg_lo:[1,0,0] neg_hi:[1,0,0]
	s_mov_b32 s66, s21
	s_mov_b32 s67, s13
	v_pk_add_f32 v[62:63], v[10:11], v[12:13] neg_lo:[0,1] neg_hi:[0,1]
	v_pk_add_f32 v[64:65], v[10:11], v[12:13]
	v_mul_f32_e32 v10, 0x3f6eb680, v60
	v_mul_f32_e32 v12, 0x3eb8f4ab, v17
	v_pk_add_f32 v[126:127], v[126:127], v[130:131]
	s_mov_b32 s70, s38
	s_mov_b32 s71, s25
	v_pk_mul_f32 v[130:131], v[58:59], s[66:67]
	v_mov_b32_e32 v63, v64
	v_pk_add_f32 v[60:61], v[10:11], v[12:13] neg_lo:[0,1] neg_hi:[0,1]
	v_pk_add_f32 v[64:65], v[10:11], v[12:13]
	v_mul_f32_e32 v10, 0xbf59a7d5, v58
	v_mul_f32_e32 v12, 0xbf06c442, v57
	v_pk_fma_f32 v[132:133], v[98:99], s[70:71], v[130:131] neg_lo:[1,0,0] neg_hi:[1,0,0]
	s_mov_b32 s68, s16
	s_mov_b32 s69, s3
	v_mov_b32_e32 v61, v64
	v_pk_add_f32 v[62:63], v[42:43], v[62:63]
	v_pk_add_f32 v[56:57], v[10:11], v[12:13] neg_lo:[0,1] neg_hi:[0,1]
	v_pk_add_f32 v[58:59], v[10:11], v[12:13]
	v_mul_f32_e32 v10, 0x3f3d2fb0, v54
	v_mul_f32_e32 v12, 0x3f2c7751, v67
	v_pk_add_f32 v[126:127], v[126:127], v[132:133]
	v_pk_mul_f32 v[132:133], v[54:55], s[68:69]
	v_pk_add_f32 v[60:61], v[62:63], v[60:61]
	v_mov_b32_e32 v57, v58
	v_pk_add_f32 v[54:55], v[10:11], v[12:13] neg_lo:[0,1] neg_hi:[0,1]
	v_pk_add_f32 v[58:59], v[10:11], v[12:13]
	v_pk_add_f32 v[56:57], v[60:61], v[56:57]
	v_mov_b32_e32 v55, v58
	v_mul_f32_e32 v10, 0xbf1a4643, v74
	v_mul_f32_e32 v12, 0xbf4c4adb, v69
	v_pk_add_f32 v[54:55], v[56:57], v[54:55]
	v_pk_add_f32 v[56:57], v[10:11], v[12:13] neg_lo:[0,1] neg_hi:[0,1]
	v_pk_add_f32 v[58:59], v[10:11], v[12:13]
	v_mul_f32_e32 v10, 0x3ee437d1, v72
	v_mov_b32_e32 v57, v58
	v_mul_f32_e32 v12, 0x3f65296c, v71
	v_pk_add_f32 v[54:55], v[54:55], v[56:57]
	v_pk_add_f32 v[56:57], v[10:11], v[12:13] neg_lo:[0,1] neg_hi:[0,1]
	v_pk_add_f32 v[58:59], v[10:11], v[12:13]
	v_mul_f32_e32 v10, 0xbe8c1d8e, v38
	v_mov_b32_e32 v57, v58
	;; [unrolled: 6-line block ×3, first 2 shown]
	v_mul_f32_e32 v12, 0x3f7ee86f, v33
	v_pk_add_f32 v[54:55], v[56:57], v[54:55]
	v_pk_add_f32 v[56:57], v[10:11], v[12:13] neg_lo:[0,1] neg_hi:[0,1]
	v_pk_add_f32 v[58:59], v[10:11], v[12:13]
	s_mov_b32 s66, s37
	v_mov_b32_e32 v57, v58
	s_mov_b32 s67, s39
	v_pk_add_f32 v[54:55], v[56:57], v[54:55]
	v_pk_fma_f32 v[52:53], v[88:89], s[64:65], v[52:53]
	v_pk_fma_f32 v[134:135], v[102:103], s[66:67], v[132:133] neg_lo:[1,0,0] neg_hi:[1,0,0]
	s_mov_b32 s72, s13
	s_mov_b32 s73, s21
	ds_write2_b32 v140, v54, v55 offset0:8 offset1:9
	v_pk_add_f32 v[52:53], v[42:43], v[52:53]
	v_pk_fma_f32 v[54:55], v[90:91], s[62:63], v[128:129]
	v_pk_add_f32 v[126:127], v[126:127], v[134:135]
	s_mov_b32 s68, s36
	s_mov_b32 s69, s38
	v_pk_mul_f32 v[134:135], v[74:75], s[72:73]
	v_pk_add_f32 v[52:53], v[52:53], v[54:55]
	v_pk_fma_f32 v[54:55], v[98:99], s[70:71], v[130:131]
	v_pk_fma_f32 v[136:137], v[106:107], s[68:69], v[134:135] neg_lo:[1,0,0] neg_hi:[1,0,0]
	s_mov_b32 s72, s18
	s_mov_b32 s73, s17
	v_pk_add_f32 v[52:53], v[52:53], v[54:55]
	v_pk_fma_f32 v[54:55], v[102:103], s[66:67], v[132:133]
	v_pk_add_f32 v[126:127], v[126:127], v[136:137]
	s_mov_b32 s45, s27
	v_pk_mul_f32 v[136:137], v[72:73], s[72:73]
	s_mov_b32 s72, s17
	s_mov_b32 s73, s18
	v_pk_add_f32 v[52:53], v[52:53], v[54:55]
	v_pk_fma_f32 v[54:55], v[106:107], s[68:69], v[134:135]
	v_pk_fma_f32 v[138:139], v[110:111], s[44:45], v[136:137] neg_lo:[1,0,0] neg_hi:[1,0,0]
	v_pk_mul_f32 v[114:115], v[114:115], s[72:73]
	s_mov_b32 s72, s27
	s_mov_b32 s73, s28
	;; [unrolled: 1-line block ×4, first 2 shown]
	v_pk_add_f32 v[52:53], v[52:53], v[54:55]
	v_pk_fma_f32 v[54:55], v[110:111], s[44:45], v[136:137]
	v_pk_add_f32 v[126:127], v[138:139], v[126:127]
	v_pk_fma_f32 v[138:139], v[116:117], s[72:73], v[114:115] neg_lo:[1,0,0] neg_hi:[1,0,0]
	v_pk_mul_f32 v[120:121], v[120:121], s[74:75]
	s_mov_b32 s74, s63
	s_mov_b32 s75, s24
	v_pk_add_f32 v[52:53], v[54:55], v[52:53]
	v_pk_fma_f32 v[54:55], v[116:117], s[72:73], v[114:115]
	v_pk_add_f32 v[126:127], v[138:139], v[126:127]
	v_pk_fma_f32 v[138:139], v[122:123], s[74:75], v[120:121] neg_lo:[1,0,0] neg_hi:[1,0,0]
	v_pk_add_f32 v[52:53], v[54:55], v[52:53]
	v_pk_fma_f32 v[54:55], v[122:123], s[74:75], v[120:121]
	v_pk_add_f32 v[126:127], v[138:139], v[126:127]
	v_pk_add_f32 v[52:53], v[54:55], v[52:53]
	ds_write2_b32 v140, v126, v127 offset0:6 offset1:7
	ds_write2_b32 v140, v53, v52 offset0:10 offset1:11
	;; [unrolled: 1-line block ×3, first 2 shown]
	v_pk_fma_f32 v[52:53], v[88:89], s[46:47], v[92:93]
	v_add_f32_e32 v1, v77, v76
	v_pk_add_f32 v[42:43], v[42:43], v[52:53]
	v_pk_fma_f32 v[52:53], v[90:91], s[48:49], v[96:97]
	v_add_f32_e32 v1, v14, v1
	v_pk_add_f32 v[42:43], v[42:43], v[52:53]
	;; [unrolled: 3-line block ×3, first 2 shown]
	v_pk_fma_f32 v[52:53], v[102:103], s[52:53], v[104:105]
	v_add_f32_e32 v1, v1, v10
	v_add_f32_e32 v10, v85, v84
	v_pk_add_f32 v[42:43], v[42:43], v[52:53]
	v_pk_fma_f32 v[52:53], v[106:107], s[54:55], v[108:109]
	v_add_f32_e32 v1, v1, v10
	v_add_f32_e32 v10, v95, v94
	v_pk_add_f32 v[42:43], v[42:43], v[52:53]
	;; [unrolled: 4-line block ×5, first 2 shown]
	v_add_f32_e32 v12, v10, v1
	v_mov_b32_e32 v10, v43
	v_mov_b32_e32 v1, v42
	ds_write2_b32 v140, v43, v42 offset0:14 offset1:15
	ds_write_b32 v140, v12 offset:64
.LBB0_13:
	s_or_b64 exec, exec, s[42:43]
	v_pk_add_f32 v[42:43], v[18:19], v[48:49]
	v_mov_b32_e32 v52, v51
	v_pk_add_f32 v[42:43], v[42:43], v[46:47]
	v_mov_b32_e32 v53, v45
	;; [unrolled: 2-line block ×4, first 2 shown]
	v_mov_b32_e32 v45, v26
	v_pk_add_f32 v[114:115], v[50:51], v[44:45] neg_lo:[0,1] neg_hi:[0,1]
	v_mov_b32_e32 v44, v37
	v_mov_b32_e32 v45, v41
	;; [unrolled: 1-line block ×4, first 2 shown]
	v_pk_add_f32 v[42:43], v[42:43], v[40:41]
	v_pk_add_f32 v[106:107], v[44:45], v[50:51]
	v_mov_b32_e32 v44, v36
	v_mov_b32_e32 v45, v40
	;; [unrolled: 1-line block ×4, first 2 shown]
	v_pk_add_f32 v[110:111], v[44:45], v[40:41] neg_lo:[0,1] neg_hi:[0,1]
	v_mov_b32_e32 v41, v49
	v_mov_b32_e32 v49, v47
	v_mov_b32_e32 v10, v8
	v_mov_b32_e32 v40, v43
	v_mov_b32_e32 v36, v37
	v_mov_b32_e32 v37, v9
	v_pk_add_f32 v[50:51], v[48:49], v[10:11] neg_lo:[0,1] neg_hi:[0,1]
	v_pk_add_f32 v[108:109], v[40:41], v[36:37]
	v_pk_mul_f32 v[62:63], v[50:51], s[24:25] op_sel_hi:[0,1]
	v_mov_b32_e32 v54, v29
	v_mov_b32_e32 v55, v27
	v_pk_add_f32 v[104:105], v[48:49], v[10:11]
	v_pk_fma_f32 v[36:37], v[108:109], s[12:13], v[62:63] op_sel:[1,0,0] neg_lo:[0,0,1] neg_hi:[0,0,1]
	v_pk_mul_f32 v[66:67], v[16:17], s[26:27] op_sel_hi:[0,1]
	v_pk_add_f32 v[112:113], v[52:53], v[54:55]
	v_pk_add_f32 v[36:37], v[18:19], v[36:37] op_sel:[1,0]
	v_pk_fma_f32 v[40:41], v[104:105], s[16:17], v[66:67] op_sel:[1,0,0] neg_lo:[0,0,1] neg_hi:[0,0,1]
	v_pk_mul_f32 v[68:69], v[114:115], s[28:29] op_sel_hi:[0,1]
	v_pk_add_f32 v[36:37], v[36:37], v[40:41]
	v_pk_fma_f32 v[40:41], v[112:113], s[18:19], v[68:69] op_sel_hi:[0,1,1] neg_lo:[0,0,1] neg_hi:[0,0,1]
	v_pk_mul_f32 v[74:75], v[114:115], s[30:31] op_sel:[1,0]
	v_pk_add_f32 v[36:37], v[36:37], v[40:41]
	v_pk_fma_f32 v[40:41], v[112:113], s[20:21], v[74:75] op_sel:[1,0,0] neg_lo:[0,0,1] neg_hi:[0,0,1]
	v_pk_mul_f32 v[76:77], v[110:111], s[34:35] op_sel:[1,0]
	v_pk_add_f32 v[36:37], v[36:37], v[40:41]
	v_pk_fma_f32 v[40:41], v[106:107], s[22:23], v[76:77] op_sel:[1,0,0] neg_lo:[0,0,1] neg_hi:[0,0,1]
	v_pk_mul_f32 v[80:81], v[110:111], s[36:37] op_sel_hi:[0,1]
	v_pk_add_f32 v[36:37], v[36:37], v[40:41]
	v_pk_fma_f32 v[40:41], v[106:107], s[8:9], v[80:81] op_sel_hi:[0,1,1] neg_lo:[0,0,1] neg_hi:[0,0,1]
	v_pk_mul_f32 v[82:83], v[34:35], s[38:39] op_sel_hi:[0,1]
	v_lshl_add_u32 v1, v0, 2, 0
	v_add_u32_e32 v26, 0xee, v0
	v_pk_add_f32 v[36:37], v[40:41], v[36:37]
	v_pk_fma_f32 v[40:41], v[38:39], s[2:3], v[82:83] op_sel:[1,0,0] neg_lo:[0,0,1] neg_hi:[0,0,1]
	v_add_u32_e32 v20, 0xa00, v1
	v_add_u32_e32 v12, 0x165, v0
	v_lshl_add_u32 v116, v26, 2, 0
	v_add_u32_e32 v24, 0xe00, v1
	v_add_u32_e32 v119, 0x253, v0
	;; [unrolled: 1-line block ×4, first 2 shown]
	v_pk_add_f32 v[36:37], v[40:41], v[36:37]
	s_waitcnt lgkmcnt(0)
	s_barrier
	ds_read2_b32 v[46:47], v1 offset1:119
	ds_read2_b32 v[40:41], v20 offset0:74 offset1:193
	ds_read2_b32 v[42:43], v24 offset0:56 offset1:175
	v_lshl_add_u32 v22, v12, 2, 0
	v_lshl_add_u32 v117, v120, 2, 0
	ds_read2_b32 v[44:45], v118 offset0:38 offset1:157
	v_lshl_add_u32 v48, v119, 2, 0
	ds_read_b32 v10, v116
	ds_read_b32 v8, v22
	;; [unrolled: 1-line block ×4, first 2 shown]
	v_pk_mul_f32 v[84:85], v[32:33], s[40:41] op_sel_hi:[0,1]
	v_pk_fma_f32 v[52:53], v[30:31], s[14:15], v[84:85] op_sel:[1,0,0] neg_lo:[0,0,1] neg_hi:[0,0,1]
	s_waitcnt lgkmcnt(0)
	v_pk_add_f32 v[36:37], v[52:53], v[36:37]
	s_barrier
	s_and_saveexec_b64 s[24:25], s[0:1]
	s_cbranch_execz .LBB0_15
; %bb.14:
	v_pk_mul_f32 v[100:101], v[104:105], s[16:17] op_sel:[1,0]
	v_mov_b32_e32 v122, v112
	v_mov_b32_e32 v123, v114
	s_mov_b32 s1, 0xbf65296c
	s_mov_b32 s0, 0x3ee437d1
	;; [unrolled: 1-line block ×3, first 2 shown]
	v_pk_mul_f32 v[124:125], v[122:123], s[0:1]
	s_mov_b32 s17, 0x3f2c7751
	v_mov_b32_e32 v92, v114
	v_mov_b32_e32 v93, v114
	v_pk_mul_f32 v[102:103], v[108:109], s[12:13] op_sel:[1,0]
	v_pk_mul_f32 v[98:99], v[112:113], s[18:19] op_sel_hi:[0,1]
	v_mov_b32_e32 v121, v124
	v_sub_f32_e32 v142, v124, v125
	s_mov_b32 s18, 0xbf59a7d5
	v_pk_mul_f32 v[124:125], v[114:115], s[16:17]
	v_mov_b32_e32 v114, v113
	s_mov_b32 s13, 0xbf7ee86f
	s_mov_b32 s12, 0x3dbcf732
	v_pk_mul_f32 v[96:97], v[112:113], s[20:21] op_sel:[1,0]
	s_mov_b32 s19, 0x3f3d2fb0
	v_pk_mul_f32 v[126:127], v[114:115], s[12:13]
	s_mov_b32 s20, 0xbe8c1d8e
	v_mov_b32_e32 v56, v112
	v_mov_b32_e32 v57, v112
	;; [unrolled: 1-line block ×4, first 2 shown]
	v_pk_mul_f32 v[94:95], v[106:107], s[22:23] op_sel:[1,0]
	v_pk_fma_f32 v[122:123], v[122:123], s[0:1], v[120:121]
	v_mov_b32_e32 v121, v126
	v_sub_f32_e32 v143, v126, v127
	v_pk_fma_f32 v[126:127], v[112:113], s[18:19], v[124:125]
	v_pk_fma_f32 v[112:113], v[112:113], s[18:19], v[124:125] neg_lo:[0,0,1] neg_hi:[0,0,1]
	v_mov_b32_e32 v124, v107
	v_mov_b32_e32 v125, v111
	s_mov_b32 s21, 0xbf763a35
	s_mov_b32 s23, 0xbf1a4643
	;; [unrolled: 1-line block ×3, first 2 shown]
	v_pk_mul_f32 v[128:129], v[124:125], s[20:21]
	v_mov_b32_e32 v130, v106
	v_mov_b32_e32 v131, v110
	s_mov_b32 s28, s23
	s_mov_b32 s29, s27
	v_mov_b32_e32 v90, v115
	v_mov_b32_e32 v91, v115
	v_pk_fma_f32 v[114:115], v[114:115], s[12:13], v[120:121]
	v_mov_b32_e32 v121, v128
	v_pk_mul_f32 v[132:133], v[130:131], s[28:29]
	v_pk_fma_f32 v[124:125], v[124:125], s[20:21], v[120:121]
	v_mov_b32_e32 v121, v132
	s_mov_b32 s26, 0x3f65296c
	v_mov_b32_e32 v88, v111
	v_mov_b32_e32 v89, v111
	;; [unrolled: 1-line block ×4, first 2 shown]
	v_pk_fma_f32 v[130:131], v[130:131], s[28:29], v[120:121]
	s_mov_b32 s22, s0
	v_pk_mul_f32 v[110:111], v[110:111], s[26:27]
	v_mov_b32_e32 v60, v107
	v_mov_b32_e32 v61, v107
	;; [unrolled: 1-line block ×4, first 2 shown]
	v_pk_mul_f32 v[134:135], v[106:107], s[8:9] op_sel_hi:[0,1]
	v_sub_f32_e32 v121, v128, v129
	v_pk_fma_f32 v[128:129], v[106:107], s[22:23], v[110:111]
	v_pk_fma_f32 v[106:107], v[106:107], s[22:23], v[110:111] neg_lo:[0,0,1] neg_hi:[0,0,1]
	v_mov_b32_e32 v111, 0x3f6eb680
	v_mov_b32_e32 v110, v23
	v_pk_mul_f32 v[136:137], v[30:31], s[14:15] op_sel:[1,0]
	v_mov_b32_e32 v130, v29
	v_mov_b32_e32 v28, v105
	;; [unrolled: 1-line block ×3, first 2 shown]
	s_mov_b32 s15, 0xbf2c7751
	s_mov_b32 s14, s19
	v_mov_b32_e32 v52, v109
	v_mov_b32_e32 v53, v109
	v_sub_f32_e32 v144, v132, v133
	v_pk_add_f32 v[132:133], v[108:109], v[110:111]
	v_pk_mul_f32 v[108:109], v[108:109], v[110:111]
	v_pk_mul_f32 v[138:139], v[28:29], s[14:15]
	v_mov_b32_e32 v122, v21
	v_mov_b32_e32 v133, v109
	;; [unrolled: 1-line block ×3, first 2 shown]
	v_mul_f32_e32 v141, 0xbeb8f4ab, v50
	v_mov_b32_e32 v140, v15
	v_pk_fma_f32 v[28:29], v[28:29], s[14:15], v[20:21]
	v_pk_add_f32 v[132:133], v[132:133], v[140:141]
	v_mov_b32_e32 v28, v13
	v_pk_add_f32 v[132:133], v[132:133], v[18:19]
	v_pk_mul_f32 v[110:111], v[38:39], s[2:3] op_sel:[1,0]
	s_mov_b32 s3, 0x3f6eb680
	v_mov_b32_e32 v104, v50
	s_mov_b32 s2, 0xbe3c28d5
	v_mov_b32_e32 v140, v52
	v_mov_b32_e32 v141, v16
	s_mov_b32 s9, 0x3eb8f4ab
	s_mov_b32 s8, 0xbf7ba420
	v_pk_add_f32 v[28:29], v[132:133], v[28:29]
	v_mov_b32_e32 v114, v25
	v_sub_f32_e32 v21, v138, v139
	v_pk_mul_f32 v[138:139], v[104:105], s[2:3]
	v_pk_mul_f32 v[140:141], v[140:141], s[8:9]
	v_pk_add_f32 v[28:29], v[28:29], v[122:123]
	v_mov_b32_e32 v54, v105
	v_mov_b32_e32 v55, v105
	v_pk_add_f32 v[28:29], v[28:29], v[114:115]
	v_fmac_f32_e32 v109, 0x3eb8f4ab, v50
	v_pk_fma_f32 v[104:105], v[104:105], s[2:3], v[140:141]
	v_mov_b32_e32 v18, v19
	v_mov_b32_e32 v114, v140
	v_mov_b32_e32 v115, v139
	v_mov_b32_e32 v139, v141
	v_add_f32_e32 v13, v19, v109
	v_pk_add_f32 v[108:109], v[18:19], v[104:105]
	v_pk_add_f32 v[114:115], v[114:115], v[138:139] neg_lo:[0,1] neg_hi:[0,1]
	v_mov_b32_e32 v30, v105
	v_mov_b32_e32 v78, v19
	;; [unrolled: 1-line block ×3, first 2 shown]
	v_pk_add_f32 v[18:19], v[18:19], v[114:115]
	v_pk_add_f32 v[104:105], v[108:109], v[30:31]
	v_mov_b32_e32 v30, v115
	v_pk_add_f32 v[18:19], v[18:19], v[30:31]
	v_pk_add_f32 v[104:105], v[104:105], v[126:127]
	v_mov_b32_e32 v30, v127
	;; [unrolled: 3-line block ×3, first 2 shown]
	v_add_f32_e32 v13, v13, v21
	v_pk_add_f32 v[18:19], v[18:19], v[30:31]
	v_mov_b32_e32 v30, v129
	v_add_f32_e32 v13, v13, v142
	v_pk_add_f32 v[104:105], v[104:105], v[30:31]
	v_mov_b32_e32 v30, v107
	v_mov_b32_e32 v64, v39
	;; [unrolled: 1-line block ×3, first 2 shown]
	v_add_f32_e32 v13, v13, v143
	v_pk_add_f32 v[18:19], v[18:19], v[30:31]
	v_mov_b32_e32 v38, v39
	v_mov_b32_e32 v39, v34
	s_mov_b32 s30, s18
	s_mov_b32 s31, s16
	v_add_f32_e32 v13, v13, v121
	v_pk_add_f32 v[18:19], v[106:107], v[18:19]
	v_pk_mul_f32 v[106:107], v[38:39], s[30:31]
	v_add_f32_e32 v15, v144, v13
	v_mov_b32_e32 v13, v106
	v_pk_fma_f32 v[108:109], v[38:39], s[30:31], v[12:13]
	v_mov_b32_e32 v124, v27
	v_mov_b32_e32 v108, v11
	v_sub_f32_e32 v11, v106, v107
	v_pk_mul_f32 v[106:107], v[38:39], s[20:21]
	v_pk_add_f32 v[28:29], v[124:125], v[28:29]
	v_add_f32_e32 v13, v11, v15
	v_mov_b32_e32 v30, v107
	v_mov_b32_e32 v11, v106
	;; [unrolled: 1-line block ×4, first 2 shown]
	s_mov_b32 s30, s8
	s_mov_b32 s31, s2
	v_pk_add_f32 v[28:29], v[130:131], v[28:29]
	v_pk_mul_f32 v[112:113], v[106:107], s[30:31]
	v_pk_add_f32 v[28:29], v[108:109], v[28:29]
	v_pk_fma_f32 v[108:109], v[38:39], s[20:21], v[30:31]
	v_pk_fma_f32 v[38:39], v[38:39], s[20:21], v[10:11] neg_lo:[1,0,0] neg_hi:[1,0,0]
	v_mov_b32_e32 v11, v112
	v_pk_add_f32 v[62:63], v[102:103], v[62:63]
	v_pk_fma_f32 v[106:107], v[106:107], s[30:31], v[10:11]
	v_pk_add_f32 v[62:63], v[78:79], v[62:63]
	v_pk_add_f32 v[66:67], v[100:101], v[66:67]
	v_mov_b32_e32 v51, v50
	v_mov_b32_e32 v106, v9
	s_mov_b32 s30, s15
	s_mov_b32 s31, s1
	v_pk_add_f32 v[62:63], v[62:63], v[66:67]
	v_pk_add_f32 v[66:67], v[98:99], v[68:69]
	v_mov_b32_e32 v17, v16
	v_pk_add_f32 v[28:29], v[106:107], v[28:29]
	v_pk_mul_f32 v[106:107], v[50:51], s[30:31]
	s_mov_b32 s30, s13
	s_mov_b32 s31, s27
	;; [unrolled: 1-line block ×6, first 2 shown]
	v_pk_add_f32 v[62:63], v[62:63], v[66:67]
	v_pk_add_f32 v[66:67], v[96:97], v[74:75]
	s_mov_b32 s29, 0xbeb8f4ab
	v_sub_f32_e32 v9, v112, v113
	v_pk_mul_f32 v[112:113], v[16:17], s[30:31]
	s_mov_b32 s30, s23
	s_mov_b32 s31, s8
	v_pk_mul_f32 v[122:123], v[92:93], s[34:35]
	s_mov_b32 s34, s8
	s_mov_b32 s35, s20
	;; [unrolled: 3-line block ×3, first 2 shown]
	v_pk_add_f32 v[62:63], v[62:63], v[66:67]
	v_pk_add_f32 v[66:67], v[94:95], v[76:77]
	;; [unrolled: 1-line block ×3, first 2 shown]
	s_mov_b32 s22, s12
	v_pk_fma_f32 v[124:125], v[56:57], s[30:31], v[122:123]
	v_pk_fma_f32 v[128:129], v[58:59], s[34:35], v[126:127]
	s_mov_b32 s28, s37
	v_pk_fma_f32 v[142:143], v[52:53], s[40:41], v[106:107]
	v_pk_fma_f32 v[122:123], v[56:57], s[30:31], v[122:123] neg_lo:[0,0,1] neg_hi:[0,0,1]
	v_pk_fma_f32 v[126:127], v[58:59], s[34:35], v[126:127] neg_lo:[0,0,1] neg_hi:[0,0,1]
	v_pk_add_f32 v[62:63], v[62:63], v[66:67]
	v_pk_add_f32 v[66:67], v[134:135], v[80:81]
	s_mov_b32 s30, s27
	s_mov_b32 s31, s16
	;; [unrolled: 1-line block ×7, first 2 shown]
	v_pk_fma_f32 v[114:115], v[54:55], s[22:23], v[112:113]
	v_pk_mul_f32 v[138:139], v[86:87], s[28:29]
	v_pk_add_f32 v[142:143], v[78:79], v[142:143]
	v_pk_add_f32 v[62:63], v[66:67], v[62:63]
	v_pk_add_f32 v[66:67], v[110:111], v[82:83]
	v_pk_mul_f32 v[50:51], v[50:51], s[30:31]
	s_mov_b32 s35, s26
	v_pk_mul_f32 v[68:69], v[92:93], s[36:37]
	s_mov_b32 s37, 0x3f4c4adb
	s_mov_b32 s36, s16
	v_pk_mul_f32 v[86:87], v[86:87], s[14:15]
	s_mov_b32 s14, s23
	s_mov_b32 s15, s18
	;; [unrolled: 1-line block ×4, first 2 shown]
	v_pk_add_f32 v[114:115], v[142:143], v[114:115]
	v_pk_add_f32 v[62:63], v[66:67], v[62:63]
	;; [unrolled: 1-line block ×3, first 2 shown]
	s_mov_b32 s30, s20
	s_mov_b32 s31, s0
	v_pk_mul_f32 v[16:17], v[16:17], s[34:35]
	v_pk_mul_f32 v[76:77], v[90:91], s[36:37]
	v_pk_fma_f32 v[90:91], v[52:53], s[14:15], v[50:51]
	v_pk_mul_f32 v[130:131], v[88:89], s[38:39]
	v_pk_add_f32 v[114:115], v[114:115], v[124:125]
	v_pk_add_f32 v[62:63], v[66:67], v[62:63]
	v_pk_fma_f32 v[66:67], v[54:55], s[30:31], v[16:17]
	s_mov_b32 s34, s3
	s_mov_b32 s35, s12
	v_pk_add_f32 v[90:91], v[78:79], v[90:91]
	v_pk_fma_f32 v[50:51], v[52:53], s[14:15], v[50:51] neg_lo:[0,0,1] neg_hi:[0,0,1]
	v_mov_b32_e32 v35, v34
	v_pk_fma_f32 v[132:133], v[60:61], s[18:19], v[130:131]
	s_mov_b32 s38, s20
	s_mov_b32 s39, s3
	v_pk_add_f32 v[114:115], v[114:115], v[128:129]
	s_mov_b32 s42, s26
	s_mov_b32 s43, s13
	v_pk_fma_f32 v[112:113], v[54:55], s[22:23], v[112:113] neg_lo:[0,0,1] neg_hi:[0,0,1]
	v_pk_fma_f32 v[106:107], v[52:53], s[40:41], v[106:107] neg_lo:[0,0,1] neg_hi:[0,0,1]
	v_pk_fma_f32 v[74:75], v[56:57], s[34:35], v[68:69]
	s_mov_b32 s22, s18
	s_mov_b32 s28, 0x3f7ee86f
	v_pk_add_f32 v[66:67], v[90:91], v[66:67]
	v_pk_fma_f32 v[16:17], v[54:55], s[30:31], v[16:17] neg_lo:[0,0,1] neg_hi:[0,0,1]
	v_pk_add_f32 v[50:51], v[78:79], v[50:51]
	v_pk_fma_f32 v[140:141], v[72:73], s[38:39], v[138:139]
	v_pk_add_f32 v[114:115], v[114:115], v[132:133]
	s_mov_b32 s1, s12
	v_pk_mul_f32 v[124:125], v[34:35], s[42:43]
	v_pk_add_f32 v[106:107], v[78:79], v[106:107]
	v_pk_fma_f32 v[80:81], v[58:59], s[22:23], v[76:77]
	s_mov_b32 s13, s3
	v_pk_mul_f32 v[82:83], v[88:89], s[28:29]
	v_pk_add_f32 v[66:67], v[66:67], v[74:75]
	v_pk_fma_f32 v[54:55], v[56:57], s[34:35], v[68:69] neg_lo:[0,0,1] neg_hi:[0,0,1]
	v_pk_add_f32 v[16:17], v[50:51], v[16:17]
	v_mov_b32_e32 v33, v32
	v_pk_add_f32 v[114:115], v[140:141], v[114:115]
	v_pk_fma_f32 v[128:129], v[64:65], s[0:1], v[124:125]
	s_mov_b32 s42, s3
	s_mov_b32 s44, s9
	;; [unrolled: 1-line block ×3, first 2 shown]
	v_pk_add_f32 v[106:107], v[106:107], v[112:113]
	v_pk_fma_f32 v[84:85], v[60:61], s[12:13], v[82:83]
	s_mov_b32 s28, s19
	s_mov_b32 s29, s8
	v_pk_add_f32 v[66:67], v[66:67], v[80:81]
	s_mov_b32 s3, s17
	v_pk_fma_f32 v[56:57], v[58:59], s[22:23], v[76:77] neg_lo:[0,0,1] neg_hi:[0,0,1]
	v_pk_add_f32 v[16:17], v[16:17], v[54:55]
	v_mov_b32_e32 v70, v31
	v_mov_b32_e32 v71, v31
	v_pk_add_f32 v[114:115], v[128:129], v[114:115]
	s_mov_b32 s43, s18
	v_pk_mul_f32 v[128:129], v[32:33], s[44:45]
	v_pk_add_f32 v[106:107], v[106:107], v[122:123]
	v_pk_fma_f32 v[88:89], v[72:73], s[28:29], v[86:87]
	v_pk_add_f32 v[66:67], v[66:67], v[84:85]
	s_mov_b32 s9, s19
	v_pk_mul_f32 v[34:35], v[34:35], s[2:3]
	v_pk_fma_f32 v[58:59], v[60:61], s[12:13], v[82:83] neg_lo:[0,0,1] neg_hi:[0,0,1]
	v_pk_add_f32 v[16:17], v[16:17], v[56:57]
	v_pk_fma_f32 v[132:133], v[70:71], s[42:43], v[128:129]
	v_pk_fma_f32 v[130:131], v[60:61], s[18:19], v[130:131] neg_lo:[0,0,1] neg_hi:[0,0,1]
	v_pk_add_f32 v[106:107], v[106:107], v[126:127]
	v_pk_add_f32 v[66:67], v[88:89], v[66:67]
	v_pk_fma_f32 v[74:75], v[64:65], s[8:9], v[34:35]
	s_mov_b32 s27, s21
	v_pk_fma_f32 v[60:61], v[72:73], s[28:29], v[86:87] neg_lo:[0,0,1] neg_hi:[0,0,1]
	v_pk_add_f32 v[16:17], v[16:17], v[58:59]
	v_pk_add_f32 v[114:115], v[132:133], v[114:115]
	v_pk_fma_f32 v[132:133], v[72:73], s[38:39], v[138:139] neg_lo:[0,0,1] neg_hi:[0,0,1]
	v_pk_add_f32 v[106:107], v[106:107], v[130:131]
	v_pk_fma_f32 v[112:113], v[64:65], s[0:1], v[124:125] neg_lo:[0,0,1] neg_hi:[0,0,1]
	v_pk_add_f32 v[66:67], v[74:75], v[66:67]
	s_mov_b32 s1, s20
	v_pk_mul_f32 v[74:75], v[32:33], s[26:27]
	v_pk_add_f32 v[16:17], v[60:61], v[16:17]
	v_pk_fma_f32 v[34:35], v[64:65], s[8:9], v[34:35] neg_lo:[0,0,1] neg_hi:[0,0,1]
	v_mul_f32_e32 v30, 0x3dbcf732, v31
	v_mul_f32_e32 v38, 0x3f7ee86f, v32
	v_mov_b32_e32 v31, v18
	v_pk_add_f32 v[106:107], v[132:133], v[106:107]
	v_pk_add_f32 v[16:17], v[34:35], v[16:17]
	v_pk_fma_f32 v[34:35], v[70:71], s[0:1], v[74:75] neg_lo:[0,0,1] neg_hi:[0,0,1]
	v_pk_add_f32 v[18:19], v[30:31], v[38:39]
	v_mov_b32_e32 v32, v104
	v_mov_b32_e32 v33, v30
	;; [unrolled: 1-line block ×4, first 2 shown]
	v_pk_add_f32 v[106:107], v[112:113], v[106:107]
	v_pk_fma_f32 v[112:113], v[70:71], s[42:43], v[128:129] neg_lo:[0,0,1] neg_hi:[0,0,1]
	v_pk_add_f32 v[16:17], v[34:35], v[16:17]
	v_pk_add_f32 v[34:35], v[104:105], v[108:109]
	v_pk_add_f32 v[30:31], v[32:33], v[30:31] neg_lo:[0,1] neg_hi:[0,1]
	v_add_f32_e32 v11, v9, v13
	v_pk_add_f32 v[106:107], v[112:113], v[106:107]
	v_pk_fma_f32 v[80:81], v[70:71], s[0:1], v[74:75]
	v_mov_b32_e32 v35, v31
	v_lshl_add_u32 v13, v0, 6, v1
	v_pk_add_f32 v[66:67], v[80:81], v[66:67]
	v_pk_add_f32 v[18:19], v[18:19], v[34:35]
	ds_write2_b32 v13, v28, v29 offset1:1
	ds_write2_b32 v13, v114, v115 offset0:2 offset1:3
	ds_write2_b32 v13, v63, v62 offset0:4 offset1:5
	;; [unrolled: 1-line block ×6, first 2 shown]
	v_mov_b32_e32 v9, v106
	ds_write2_b32 v13, v107, v106 offset0:14 offset1:15
	ds_write_b32 v13, v11 offset:64
.LBB0_15:
	s_or_b64 exec, exec, s[24:25]
	v_add_u32_e32 v58, 0x77, v0
	s_movk_i32 s0, 0xf1
	v_mul_lo_u16_sdwa v13, v58, s0 dst_sel:DWORD dst_unused:UNUSED_PAD src0_sel:BYTE_0 src1_sel:DWORD
	v_lshrrev_b16_e32 v17, 12, v13
	v_mul_lo_u16_sdwa v9, v0, s0 dst_sel:DWORD dst_unused:UNUSED_PAD src0_sel:BYTE_0 src1_sel:DWORD
	v_mul_lo_u16_e32 v13, 17, v17
	s_mov_b32 s0, 0xf0f1
	v_sub_u16_e32 v18, v58, v13
	v_mul_u32_u24_sdwa v13, v26, s0 dst_sel:DWORD dst_unused:UNUSED_PAD src0_sel:WORD_0 src1_sel:DWORD
	v_lshrrev_b32_e32 v19, 20, v13
	v_mul_lo_u16_e32 v13, 17, v19
	v_lshrrev_b16_e32 v11, 12, v9
	v_sub_u16_e32 v23, v26, v13
	v_mul_u32_u24_sdwa v13, v12, s0 dst_sel:DWORD dst_unused:UNUSED_PAD src0_sel:WORD_0 src1_sel:DWORD
	v_mul_lo_u16_e32 v9, 17, v11
	v_lshrrev_b32_e32 v25, 20, v13
	v_sub_u16_e32 v15, v0, v9
	v_mov_b32_e32 v9, 3
	v_mul_lo_u16_e32 v13, 17, v25
	v_lshlrev_b32_sdwa v16, v9, v15 dst_sel:DWORD dst_unused:UNUSED_PAD src0_sel:DWORD src1_sel:BYTE_0
	v_lshlrev_b32_sdwa v9, v9, v18 dst_sel:DWORD dst_unused:UNUSED_PAD src0_sel:DWORD src1_sel:BYTE_0
	v_sub_u16_e32 v63, v12, v13
	s_load_dwordx2 s[2:3], s[6:7], 0x0
	s_waitcnt lgkmcnt(0)
	s_barrier
	v_lshlrev_b32_e32 v21, 3, v23
	v_lshlrev_b32_e32 v32, 3, v63
	global_load_dwordx2 v[30:31], v16, s[4:5]
	global_load_dwordx2 v[28:29], v9, s[4:5]
	;; [unrolled: 1-line block ×4, first 2 shown]
	v_mul_u32_u24_sdwa v9, v120, s0 dst_sel:DWORD dst_unused:UNUSED_PAD src0_sel:WORD_0 src1_sel:DWORD
	v_lshrrev_b32_e32 v64, 20, v9
	v_mul_u32_u24_sdwa v16, v119, s0 dst_sel:DWORD dst_unused:UNUSED_PAD src0_sel:WORD_0 src1_sel:DWORD
	v_mul_lo_u16_e32 v9, 17, v64
	v_lshrrev_b32_e32 v66, 20, v16
	v_sub_u16_e32 v65, v120, v9
	v_mul_lo_u16_e32 v16, 17, v66
	v_lshlrev_b32_e32 v9, 3, v65
	v_sub_u16_e32 v67, v119, v16
	v_lshlrev_b32_e32 v16, 3, v67
	global_load_dwordx2 v[50:51], v9, s[4:5]
	global_load_dwordx2 v[38:39], v16, s[4:5]
	v_mov_b32_e32 v16, 2
	ds_read2_b32 v[34:35], v1 offset1:119
	ds_read2_b32 v[56:57], v20 offset0:74 offset1:193
	ds_read2_b32 v[54:55], v24 offset0:56 offset1:175
	ds_read2_b32 v[52:53], v118 offset0:38 offset1:157
	ds_read_b32 v60, v116
	ds_read_b32 v33, v22
	;; [unrolled: 1-line block ×4, first 2 shown]
	v_mul_u32_u24_e32 v11, 0x88, v11
	v_mul_u32_u24_e32 v17, 0x88, v17
	v_lshlrev_b32_sdwa v15, v16, v15 dst_sel:DWORD dst_unused:UNUSED_PAD src0_sel:DWORD src1_sel:BYTE_0
	v_lshlrev_b32_sdwa v16, v16, v18 dst_sel:DWORD dst_unused:UNUSED_PAD src0_sel:DWORD src1_sel:BYTE_0
	s_mov_b32 s1, 0x5040100
	v_add3_u32 v61, 0, v11, v15
	v_add3_u32 v62, 0, v17, v16
	v_perm_b32 v22, v25, v19, s1
	v_add_f32_e32 v9, v49, v49
	s_movk_i32 s0, 0x88
	s_waitcnt lgkmcnt(0)
	s_barrier
	s_waitcnt vmcnt(5)
	v_mul_f32_e32 v11, v56, v31
	s_waitcnt vmcnt(4)
	v_mul_f32_e32 v15, v57, v29
	;; [unrolled: 2-line block ×4, first 2 shown]
	v_mul_f32_e32 v16, v55, v13
	v_fma_f32 v11, v40, v30, -v11
	v_fma_f32 v15, v41, v28, -v15
	;; [unrolled: 1-line block ×3, first 2 shown]
	v_sub_f32_e32 v24, v46, v11
	v_sub_f32_e32 v15, v47, v15
	;; [unrolled: 1-line block ×3, first 2 shown]
	s_waitcnt vmcnt(1)
	v_mul_f32_e32 v18, v52, v51
	s_waitcnt vmcnt(0)
	v_mul_f32_e32 v19, v53, v39
	v_fma_f32 v17, v44, v50, -v18
	v_fma_f32 v18, v45, v38, -v19
	v_pk_add_f32 v[20:21], v[48:49], v[16:17] neg_lo:[0,1] neg_hi:[0,1]
	v_sub_f32_e32 v16, v14, v18
	v_fma_f32 v17, v46, 2.0, -v24
	v_fma_f32 v18, v47, 2.0, -v15
	;; [unrolled: 1-line block ×3, first 2 shown]
	v_pk_add_f32 v[10:11], v[8:9], v[20:21] neg_lo:[0,1] neg_hi:[0,1]
	v_pk_mul_lo_u16 v9, v22, s0 op_sel_hi:[1,0]
	v_fma_f32 v19, v14, 2.0, -v16
	ds_write2_b32 v61, v17, v24 offset1:17
	ds_write2_b32 v62, v18, v15 offset1:17
	v_and_b32_e32 v14, 0xfff8, v9
	v_lshlrev_b32_e32 v15, 2, v23
	v_add3_u32 v46, 0, v14, v15
	v_lshrrev_b32_e32 v9, 16, v9
	v_lshlrev_b32_e32 v14, 2, v63
	v_fma_f32 v8, v8, 2.0, -v10
	ds_write2_b32 v46, v47, v25 offset1:17
	v_add3_u32 v47, 0, v9, v14
	ds_write2_b32 v47, v8, v10 offset1:17
	v_perm_b32 v8, v66, v64, s1
	v_pk_mul_lo_u16 v8, v8, s0 op_sel_hi:[1,0]
	v_lshlrev_b32_e32 v14, 2, v65
	v_and_b32_e32 v9, 0xfff8, v8
	v_add3_u32 v48, 0, v9, v14
	v_lshrrev_b32_e32 v8, 16, v8
	v_lshlrev_b32_e32 v9, 2, v67
	v_add3_u32 v49, 0, v8, v9
	v_add_u32_e32 v63, 0x600, v1
	v_add_u32_e32 v64, 0xc00, v1
	ds_write2_b32 v48, v11, v21 offset1:17
	ds_write2_b32 v49, v19, v16 offset1:17
	s_waitcnt lgkmcnt(0)
	s_barrier
	ds_read2_b32 v[14:15], v1 offset1:204
	ds_read2_b32 v[24:25], v63 offset0:24 offset1:228
	ds_read2_b32 v[22:23], v64 offset0:48 offset1:252
	ds_read_b32 v20, v1 offset:4896
	s_movk_i32 s0, 0x55
	v_cmp_gt_u32_e64 s[0:1], s0, v0
	s_and_saveexec_b64 s[6:7], s[0:1]
	s_cbranch_execz .LBB0_17
; %bb.16:
	v_add_u32_e32 v6, 0x180, v1
	ds_read2_b32 v[10:11], v6 offset0:23 offset1:227
	v_add_u32_e32 v6, 0x800, v1
	ds_read2_b32 v[18:19], v6 offset0:15 offset1:219
	;; [unrolled: 2-line block ×3, first 2 shown]
	ds_read_b32 v7, v1 offset:5372
	s_waitcnt lgkmcnt(2)
	v_mov_b32_e32 v21, v18
	s_waitcnt lgkmcnt(1)
	v_mov_b32_e32 v6, v17
.LBB0_17:
	s_or_b64 exec, exec, s[6:7]
	v_mul_f32_e32 v8, v40, v31
	v_mul_f32_e32 v13, v43, v13
	v_fmac_f32_e32 v8, v56, v30
	v_mul_f32_e32 v17, v42, v27
	v_fmac_f32_e32 v13, v55, v12
	v_mul_f32_e32 v12, v45, v39
	v_mul_f32_e32 v9, v41, v29
	v_fmac_f32_e32 v17, v54, v26
	v_mul_f32_e32 v26, v44, v51
	v_fmac_f32_e32 v12, v53, v38
	v_sub_f32_e32 v18, v34, v8
	v_sub_f32_e32 v8, v33, v13
	v_fmac_f32_e32 v9, v57, v28
	v_fmac_f32_e32 v26, v52, v50
	v_fma_f32 v13, v33, 2.0, -v8
	v_sub_f32_e32 v27, v59, v12
	v_add_f32_e32 v33, v59, v59
	v_fma_f32 v30, v34, 2.0, -v18
	v_sub_f32_e32 v31, v35, v9
	v_sub_f32_e32 v17, v60, v17
	v_pk_add_f32 v[28:29], v[32:33], v[26:27] neg_lo:[0,1] neg_hi:[0,1]
	v_fma_f32 v34, v35, 2.0, -v31
	v_fma_f32 v35, v60, 2.0, -v17
	;; [unrolled: 1-line block ×3, first 2 shown]
	s_waitcnt lgkmcnt(0)
	s_barrier
	ds_write2_b32 v61, v30, v18 offset1:17
	ds_write2_b32 v62, v34, v31 offset1:17
	;; [unrolled: 1-line block ×6, first 2 shown]
	s_waitcnt lgkmcnt(0)
	s_barrier
	ds_read2_b32 v[12:13], v1 offset1:204
	ds_read2_b32 v[32:33], v63 offset0:24 offset1:228
	ds_read2_b32 v[30:31], v64 offset0:48 offset1:252
	ds_read_b32 v17, v1 offset:4896
	s_and_saveexec_b64 s[6:7], s[0:1]
	s_cbranch_execz .LBB0_19
; %bb.18:
	v_add_u32_e32 v8, 0x180, v1
	ds_read2_b32 v[8:9], v8 offset0:23 offset1:227
	v_add_u32_e32 v26, 0xe00, v1
	v_add_u32_e32 v18, 0x800, v1
	ds_read2_b32 v[34:35], v26 offset0:39 offset1:243
	ds_read2_b32 v[28:29], v18 offset0:15 offset1:219
	ds_read_b32 v37, v1 offset:5372
	s_waitcnt lgkmcnt(2)
	v_mov_b32_e32 v27, v34
	v_mov_b32_e32 v36, v35
.LBB0_19:
	s_or_b64 exec, exec, s[6:7]
	s_movk_i32 s6, 0xf1
	v_mul_lo_u16_sdwa v18, v0, s6 dst_sel:DWORD dst_unused:UNUSED_PAD src0_sel:BYTE_0 src1_sel:DWORD
	v_lshrrev_b16_e32 v56, 13, v18
	v_mul_lo_u16_e32 v18, 34, v56
	v_sub_u16_e32 v57, v0, v18
	v_mov_b32_e32 v18, 6
	v_mul_u32_u24_sdwa v26, v57, v18 dst_sel:DWORD dst_unused:UNUSED_PAD src0_sel:BYTE_0 src1_sel:DWORD
	v_lshlrev_b32_e32 v34, 3, v26
	v_mul_lo_u16_sdwa v26, v58, s6 dst_sel:DWORD dst_unused:UNUSED_PAD src0_sel:BYTE_0 src1_sel:DWORD
	v_lshrrev_b16_e32 v26, 13, v26
	v_mul_lo_u16_e32 v35, 34, v26
	global_load_dwordx4 v[48:51], v34, s[4:5] offset:136
	global_load_dwordx4 v[52:55], v34, s[4:5] offset:152
	;; [unrolled: 1-line block ×3, first 2 shown]
	v_sub_u16_e32 v34, v58, v35
	v_mul_u32_u24_sdwa v18, v34, v18 dst_sel:DWORD dst_unused:UNUSED_PAD src0_sel:BYTE_0 src1_sel:DWORD
	v_lshlrev_b32_e32 v18, 3, v18
	global_load_dwordx4 v[64:67], v18, s[4:5] offset:136
	global_load_dwordx4 v[68:71], v18, s[4:5] offset:152
	;; [unrolled: 1-line block ×3, first 2 shown]
	s_mov_b32 s8, 0x3f5ff5aa
	s_mov_b32 s9, 0x3f3bfb3b
	;; [unrolled: 1-line block ×4, first 2 shown]
	s_waitcnt lgkmcnt(0)
	s_barrier
	s_waitcnt vmcnt(5)
	v_mul_f32_e32 v59, v13, v49
	v_mul_f32_e32 v18, v15, v49
	v_mul_f32_e32 v49, v32, v51
	v_mul_f32_e32 v43, v24, v51
	s_waitcnt vmcnt(4)
	v_mul_f32_e32 v51, v33, v53
	v_mul_f32_e32 v44, v25, v53
	v_mul_f32_e32 v53, v30, v55
	v_mul_f32_e32 v45, v22, v55
	;; [unrolled: 5-line block ×5, first 2 shown]
	s_waitcnt vmcnt(0)
	v_mul_f32_e32 v71, v36, v73
	v_fma_f32 v15, v15, v48, -v59
	v_fmac_f32_e32 v18, v13, v48
	v_fma_f32 v13, v24, v50, -v49
	v_fmac_f32_e32 v45, v30, v54
	v_fma_f32 v30, v23, v60, -v55
	v_fma_f32 v20, v20, v62, -v61
	v_mul_f32_e32 v41, v6, v73
	v_mul_f32_e32 v73, v37, v75
	v_fmac_f32_e32 v43, v32, v50
	v_fma_f32 v25, v25, v52, -v51
	v_fmac_f32_e32 v44, v33, v52
	v_fma_f32 v32, v22, v54, -v53
	v_fmac_f32_e32 v46, v31, v60
	v_fmac_f32_e32 v47, v17, v62
	v_fma_f32 v22, v11, v64, -v63
	v_fma_f32 v23, v6, v72, -v71
	v_add_f32_e32 v6, v15, v20
	v_add_f32_e32 v11, v13, v30
	v_mul_f32_e32 v42, v7, v75
	v_fmac_f32_e32 v35, v9, v64
	v_fma_f32 v9, v21, v66, -v65
	v_fmac_f32_e32 v38, v28, v66
	v_fma_f32 v21, v16, v70, -v69
	;; [unrolled: 2-line block ×3, first 2 shown]
	v_sub_f32_e32 v7, v18, v47
	v_sub_f32_e32 v16, v43, v46
	v_add_f32_e32 v17, v25, v32
	v_sub_f32_e32 v27, v45, v44
	v_add_f32_e32 v28, v11, v6
	v_fmac_f32_e32 v39, v29, v68
	v_sub_f32_e32 v29, v11, v6
	v_sub_f32_e32 v6, v6, v17
	;; [unrolled: 1-line block ×3, first 2 shown]
	v_add_f32_e32 v31, v27, v16
	v_sub_f32_e32 v33, v27, v16
	v_sub_f32_e32 v16, v16, v7
	v_add_f32_e32 v17, v17, v28
	v_sub_f32_e32 v27, v7, v27
	v_add_f32_e32 v7, v31, v7
	v_mul_f32_e32 v6, 0x3f4a47b2, v6
	v_mul_f32_e32 v28, 0x3d64c772, v11
	v_mul_f32_e32 v31, 0xbf08b237, v33
	v_mul_f32_e32 v33, 0x3f5ff5aa, v16
	v_add_f32_e32 v14, v14, v17
	v_fma_f32 v28, v29, s9, -v28
	v_fmamk_f32 v17, v17, 0xbf955555, v14
	v_fma_f32 v29, v29, s12, -v6
	v_fmac_f32_e32 v6, 0x3d64c772, v11
	v_fma_f32 v11, v16, s8, -v31
	v_fmac_f32_e32 v31, 0x3eae86e6, v27
	v_fma_f32 v16, v27, s13, -v33
	v_add_f32_e32 v6, v6, v17
	v_add_f32_e32 v27, v28, v17
	;; [unrolled: 1-line block ×3, first 2 shown]
	v_fmac_f32_e32 v31, 0x3ee1c552, v7
	v_fmac_f32_e32 v16, 0x3ee1c552, v7
	;; [unrolled: 1-line block ×3, first 2 shown]
	v_add_f32_e32 v7, v31, v6
	v_add_f32_e32 v28, v16, v17
	v_sub_f32_e32 v16, v17, v16
	v_sub_f32_e32 v17, v6, v31
	v_mov_b32_e32 v6, 2
	v_sub_f32_e32 v29, v27, v11
	v_add_f32_e32 v11, v11, v27
	v_mul_u32_u24_e32 v27, 0x3b8, v56
	v_lshlrev_b32_sdwa v31, v6, v57 dst_sel:DWORD dst_unused:UNUSED_PAD src0_sel:DWORD src1_sel:BYTE_0
	v_fma_f32 v19, v19, v68, -v67
	v_fmac_f32_e32 v41, v36, v72
	v_fmac_f32_e32 v42, v37, v74
	v_add3_u32 v27, 0, v27, v31
	ds_write2_b32 v27, v14, v7 offset1:34
	ds_write2_b32 v27, v28, v29 offset0:68 offset1:102
	ds_write2_b32 v27, v11, v16 offset0:136 offset1:170
	ds_write_b32 v27, v17 offset:816
	s_and_saveexec_b64 s[6:7], s[0:1]
	s_cbranch_execz .LBB0_21
; %bb.20:
	v_add_f32_e32 v7, v22, v24
	v_add_f32_e32 v16, v9, v23
	;; [unrolled: 1-line block ×4, first 2 shown]
	v_sub_f32_e32 v31, v40, v39
	v_sub_f32_e32 v36, v38, v41
	;; [unrolled: 1-line block ×4, first 2 shown]
	v_add_f32_e32 v11, v11, v29
	v_sub_f32_e32 v29, v35, v42
	v_sub_f32_e32 v37, v31, v36
	v_mul_f32_e32 v14, 0x3f4a47b2, v14
	v_mul_f32_e32 v28, 0x3d64c772, v17
	v_add_f32_e32 v10, v10, v11
	v_sub_f32_e32 v33, v29, v31
	v_mul_f32_e32 v37, 0xbf08b237, v37
	v_add_f32_e32 v31, v31, v36
	v_sub_f32_e32 v7, v16, v7
	v_sub_f32_e32 v16, v36, v29
	v_fmamk_f32 v17, v17, 0x3d64c772, v14
	v_fmamk_f32 v11, v11, 0xbf955555, v10
	;; [unrolled: 1-line block ×3, first 2 shown]
	v_add_f32_e32 v31, v31, v29
	v_fma_f32 v14, v7, s12, -v14
	v_mul_f32_e32 v29, 0x3f5ff5aa, v16
	v_fma_f32 v16, v16, s8, -v37
	v_fma_f32 v7, v7, s9, -v28
	v_add_f32_e32 v17, v17, v11
	v_fmac_f32_e32 v48, 0x3ee1c552, v31
	v_fmac_f32_e32 v16, 0x3ee1c552, v31
	v_add_f32_e32 v7, v7, v11
	v_sub_f32_e32 v49, v17, v48
	v_add_f32_e32 v14, v14, v11
	v_fma_f32 v29, v33, s13, -v29
	v_add_f32_e32 v11, v16, v7
	v_sub_f32_e32 v7, v7, v16
	v_add_f32_e32 v16, v48, v17
	v_mul_u32_u24_e32 v17, 0x3b8, v26
	v_lshlrev_b32_sdwa v6, v6, v34 dst_sel:DWORD dst_unused:UNUSED_PAD src0_sel:DWORD src1_sel:BYTE_0
	v_fmac_f32_e32 v29, 0x3ee1c552, v31
	v_add3_u32 v6, 0, v17, v6
	v_sub_f32_e32 v33, v14, v29
	v_add_f32_e32 v14, v29, v14
	ds_write2_b32 v6, v10, v16 offset1:34
	ds_write2_b32 v6, v14, v7 offset0:68 offset1:102
	ds_write2_b32 v6, v11, v33 offset0:136 offset1:170
	ds_write_b32 v6, v49 offset:816
.LBB0_21:
	s_or_b64 exec, exec, s[6:7]
	v_add_f32_e32 v6, v18, v47
	v_add_f32_e32 v10, v43, v46
	v_sub_f32_e32 v7, v15, v20
	v_sub_f32_e32 v11, v13, v30
	v_add_f32_e32 v13, v44, v45
	v_sub_f32_e32 v14, v32, v25
	v_add_f32_e32 v15, v10, v6
	v_sub_f32_e32 v16, v10, v6
	v_sub_f32_e32 v6, v6, v13
	;; [unrolled: 1-line block ×4, first 2 shown]
	v_add_f32_e32 v13, v13, v15
	v_add_f32_e32 v17, v14, v11
	v_sub_f32_e32 v11, v11, v7
	v_add_f32_e32 v25, v12, v13
	v_mul_f32_e32 v6, 0x3f4a47b2, v6
	v_mul_f32_e32 v12, 0x3d64c772, v10
	;; [unrolled: 1-line block ×3, first 2 shown]
	v_sub_f32_e32 v14, v7, v14
	v_add_f32_e32 v7, v17, v7
	v_mul_f32_e32 v17, 0x3f5ff5aa, v11
	v_fmamk_f32 v13, v13, 0xbf955555, v25
	v_fma_f32 v12, v16, s9, -v12
	v_fma_f32 v16, v16, s12, -v6
	v_fmac_f32_e32 v6, 0x3d64c772, v10
	v_fma_f32 v10, v11, s8, -v15
	v_fmac_f32_e32 v15, 0x3eae86e6, v14
	v_fma_f32 v11, v14, s13, -v17
	v_add_f32_e32 v12, v12, v13
	v_fmac_f32_e32 v10, 0x3ee1c552, v7
	v_add_f32_e32 v6, v6, v13
	v_add_f32_e32 v13, v16, v13
	v_fmac_f32_e32 v15, 0x3ee1c552, v7
	v_fmac_f32_e32 v11, 0x3ee1c552, v7
	v_add_f32_e32 v30, v10, v12
	v_sub_f32_e32 v31, v12, v10
	v_add_u32_e32 v10, 0xa00, v1
	v_sub_f32_e32 v28, v6, v15
	v_sub_f32_e32 v29, v13, v11
	v_add_f32_e32 v32, v11, v13
	v_add_f32_e32 v33, v15, v6
	s_waitcnt lgkmcnt(0)
	s_barrier
	ds_read2_b32 v[6:7], v1 offset1:119
	ds_read_b32 v18, v116
	ds_read_b32 v20, v117
	ds_read2_b32 v[12:13], v10 offset0:74 offset1:193
	v_add_u32_e32 v10, 0xe00, v1
	ds_read2_b32 v[16:17], v10 offset0:56 offset1:175
	v_add_u32_e32 v10, 0x1200, v1
	;; [unrolled: 2-line block ×3, first 2 shown]
	ds_read2_b32 v[10:11], v10 offset0:5 offset1:243
	s_waitcnt lgkmcnt(0)
	s_barrier
	ds_write2_b32 v27, v25, v28 offset1:34
	ds_write2_b32 v27, v29, v30 offset0:68 offset1:102
	ds_write2_b32 v27, v31, v32 offset0:136 offset1:170
	ds_write_b32 v27, v33 offset:816
	s_and_saveexec_b64 s[6:7], s[0:1]
	s_cbranch_execz .LBB0_23
; %bb.22:
	v_add_f32_e32 v25, v35, v42
	v_sub_f32_e32 v22, v22, v24
	v_add_f32_e32 v24, v38, v41
	v_sub_f32_e32 v9, v9, v23
	;; [unrolled: 2-line block ×4, first 2 shown]
	v_sub_f32_e32 v25, v25, v23
	v_sub_f32_e32 v24, v23, v24
	v_add_f32_e32 v28, v19, v9
	v_sub_f32_e32 v29, v19, v9
	v_sub_f32_e32 v19, v22, v19
	;; [unrolled: 1-line block ×3, first 2 shown]
	v_add_f32_e32 v21, v23, v21
	v_add_f32_e32 v22, v28, v22
	v_mul_f32_e32 v23, 0x3f4a47b2, v25
	v_mul_f32_e32 v25, 0x3d64c772, v24
	;; [unrolled: 1-line block ×3, first 2 shown]
	s_mov_b32 s0, 0x3f5ff5aa
	s_mov_b32 s1, 0x3f3bfb3b
	v_add_f32_e32 v8, v8, v21
	v_mul_f32_e32 v29, 0x3f5ff5aa, v9
	v_fma_f32 v25, v27, s1, -v25
	s_mov_b32 s1, 0xbf3bfb3b
	v_fma_f32 v9, v9, s0, -v28
	s_mov_b32 s0, 0xbeae86e6
	v_fmamk_f32 v21, v21, 0xbf955555, v8
	v_fma_f32 v27, v27, s1, -v23
	v_fmac_f32_e32 v23, 0x3d64c772, v24
	v_fmamk_f32 v24, v19, 0x3eae86e6, v28
	v_fma_f32 v19, v19, s0, -v29
	v_add_f32_e32 v23, v23, v21
	v_add_f32_e32 v25, v25, v21
	;; [unrolled: 1-line block ×3, first 2 shown]
	v_fmac_f32_e32 v24, 0x3ee1c552, v22
	v_fmac_f32_e32 v19, 0x3ee1c552, v22
	;; [unrolled: 1-line block ×3, first 2 shown]
	v_sub_f32_e32 v22, v23, v24
	v_sub_f32_e32 v27, v21, v19
	v_add_f32_e32 v19, v19, v21
	v_add_f32_e32 v21, v24, v23
	v_mov_b32_e32 v24, 2
	v_mul_u32_u24_e32 v23, 0x3b8, v26
	v_lshlrev_b32_sdwa v24, v24, v34 dst_sel:DWORD dst_unused:UNUSED_PAD src0_sel:DWORD src1_sel:BYTE_0
	v_add3_u32 v23, 0, v23, v24
	v_add_f32_e32 v28, v9, v25
	v_sub_f32_e32 v9, v25, v9
	ds_write2_b32 v23, v8, v22 offset1:34
	ds_write2_b32 v23, v27, v28 offset0:68 offset1:102
	ds_write2_b32 v23, v9, v19 offset0:136 offset1:170
	ds_write_b32 v23, v21 offset:816
.LBB0_23:
	s_or_b64 exec, exec, s[6:7]
	s_waitcnt lgkmcnt(0)
	s_barrier
	s_and_saveexec_b64 s[0:1], vcc
	s_cbranch_execz .LBB0_25
; %bb.24:
	v_mul_u32_u24_e32 v8, 5, v0
	v_lshlrev_b32_e32 v19, 3, v8
	global_load_dwordx4 v[22:25], v19, s[4:5] offset:1768
	global_load_dwordx4 v[26:29], v19, s[4:5] offset:1784
	global_load_dwordx2 v[8:9], v19, s[4:5] offset:1800
	v_mul_lo_u32 v19, s3, v4
	v_mul_lo_u32 v21, s2, v5
	v_mad_u64_u32 v[30:31], s[0:1], s2, v4, 0
	v_mul_u32_u24_e32 v32, 5, v58
	v_add_u32_e32 v33, 0x580, v1
	v_add_u32_e32 v34, 0xe00, v1
	;; [unrolled: 1-line block ×4, first 2 shown]
	v_mov_b32_e32 v42, v6
	v_add3_u32 v31, v31, v21, v19
	v_lshlrev_b32_e32 v6, 3, v32
	ds_read2_b32 v[4:5], v1 offset1:119
	ds_read_b32 v38, v117
	ds_read_b32 v40, v116
	ds_read2_b32 v[44:45], v33 offset0:5 offset1:243
	ds_read2_b32 v[46:47], v34 offset0:56 offset1:175
	;; [unrolled: 1-line block ×4, first 2 shown]
	v_lshl_add_u64 v[52:53], v[30:31], 3, s[10:11]
	global_load_dwordx2 v[54:55], v6, s[4:5] offset:1800
	global_load_dwordx4 v[30:33], v6, s[4:5] offset:1784
	global_load_dwordx4 v[34:37], v6, s[4:5] offset:1768
	v_lshl_add_u64 v[2:3], v[2:3], 3, v[52:53]
	s_mov_b32 s0, 0x3f5db3d7
	s_waitcnt lgkmcnt(6)
	v_mov_b32_e32 v43, v4
	s_mov_b32 s1, 0xbf5db3d7
	v_mov_b32_e32 v1, 0
	v_lshl_add_u64 v[2:3], v[0:1], 3, v[2:3]
	s_movk_i32 s2, 0x1000
	v_mov_b32_e32 v6, v11
	s_waitcnt vmcnt(5) lgkmcnt(5)
	v_pk_mul_f32 v[38:39], v[24:25], v[38:39] op_sel_hi:[1,0]
	s_waitcnt vmcnt(4) lgkmcnt(2)
	v_pk_mul_f32 v[52:53], v[28:29], v[46:47] op_sel_hi:[1,0]
	s_waitcnt lgkmcnt(1)
	v_pk_mul_f32 v[56:57], v[26:27], v[48:49] op_sel_hi:[1,0]
	s_waitcnt vmcnt(3) lgkmcnt(0)
	v_pk_mul_f32 v[60:61], v[8:9], v[50:51] op_sel_hi:[1,0]
	v_pk_mul_f32 v[40:41], v[22:23], v[40:41] op_sel_hi:[1,0]
	v_pk_fma_f32 v[62:63], v[20:21], v[24:25], v[38:39] op_sel:[0,0,1] op_sel_hi:[1,1,0] neg_lo:[0,0,1] neg_hi:[0,0,1]
	v_pk_fma_f32 v[20:21], v[20:21], v[24:25], v[38:39] op_sel:[0,0,1] op_sel_hi:[0,1,0]
	v_pk_fma_f32 v[24:25], v[16:17], v[28:29], v[52:53] op_sel:[0,0,1] op_sel_hi:[1,1,0] neg_lo:[0,0,1] neg_hi:[0,0,1]
	v_pk_fma_f32 v[28:29], v[16:17], v[28:29], v[52:53] op_sel:[0,0,1] op_sel_hi:[0,1,0]
	v_pk_fma_f32 v[38:39], v[12:13], v[26:27], v[56:57] op_sel:[0,0,1] op_sel_hi:[1,1,0] neg_lo:[0,0,1] neg_hi:[0,0,1]
	v_pk_fma_f32 v[26:27], v[12:13], v[26:27], v[56:57] op_sel:[0,0,1] op_sel_hi:[0,1,0]
	v_pk_fma_f32 v[52:53], v[14:15], v[8:9], v[60:61] op_sel:[0,0,1] op_sel_hi:[1,1,0] neg_lo:[0,0,1] neg_hi:[0,0,1]
	v_pk_fma_f32 v[8:9], v[14:15], v[8:9], v[60:61] op_sel:[0,0,1] op_sel_hi:[0,1,0]
	v_pk_fma_f32 v[56:57], v[18:19], v[22:23], v[40:41] op_sel:[0,0,1] op_sel_hi:[1,1,0] neg_lo:[0,0,1] neg_hi:[0,0,1]
	v_pk_fma_f32 v[18:19], v[18:19], v[22:23], v[40:41] op_sel:[0,0,1] op_sel_hi:[0,1,0]
	v_mov_b32_e32 v39, v27
	v_mov_b32_e32 v53, v9
	;; [unrolled: 1-line block ×4, first 2 shown]
	v_pk_add_f32 v[22:23], v[38:39], v[52:53]
	v_mov_b32_e32 v25, v29
	v_pk_add_f32 v[8:9], v[42:43], v[62:63]
	v_pk_add_f32 v[18:19], v[56:57], v[38:39]
	v_pk_add_f32 v[20:21], v[38:39], v[52:53] neg_lo:[0,1] neg_hi:[0,1]
	v_pk_fma_f32 v[22:23], v[22:23], 0.5, v[56:57] op_sel_hi:[1,0,1] neg_lo:[1,0,0] neg_hi:[1,0,0]
	v_pk_add_f32 v[26:27], v[62:63], v[24:25]
	v_pk_add_f32 v[28:29], v[62:63], v[24:25] neg_lo:[0,1] neg_hi:[0,1]
	v_pk_add_f32 v[8:9], v[8:9], v[24:25]
	v_pk_add_f32 v[18:19], v[18:19], v[52:53]
	v_pk_fma_f32 v[38:39], v[20:21], s[0:1], v[22:23] op_sel:[0,0,1] op_sel_hi:[1,0,0]
	v_pk_fma_f32 v[20:21], v[20:21], s[0:1], v[22:23] op_sel:[0,0,1] op_sel_hi:[1,0,0] neg_lo:[1,0,0] neg_hi:[1,0,0]
	v_pk_fma_f32 v[24:25], v[26:27], 0.5, v[42:43] op_sel_hi:[1,0,1] neg_lo:[1,0,0] neg_hi:[1,0,0]
	v_pk_mul_f32 v[26:27], v[28:29], s[0:1] op_sel_hi:[1,0]
	v_pk_add_f32 v[28:29], v[8:9], v[18:19]
	v_pk_add_f32 v[8:9], v[8:9], v[18:19] neg_lo:[0,1] neg_hi:[0,1]
	v_mov_b32_e32 v18, v38
	v_mov_b32_e32 v19, v21
	v_mul_f32_e32 v0, 0xbf5db3d7, v39
	v_mul_f32_e32 v4, 0x3f5db3d7, v20
	v_pk_add_f32 v[22:23], v[24:25], v[26:27] op_sel:[0,1] op_sel_hi:[1,0] neg_lo:[0,1] neg_hi:[0,1]
	v_pk_add_f32 v[24:25], v[24:25], v[26:27] op_sel:[0,1] op_sel_hi:[1,0]
	global_store_dwordx2 v[2:3], v[28:29], off
	v_pk_mul_f32 v[28:29], v[18:19], 0.5 op_sel_hi:[1,0]
	v_fmac_f32_e32 v0, 0.5, v20
	v_fmac_f32_e32 v4, 0.5, v39
	v_mov_b32_e32 v26, v22
	v_mov_b32_e32 v27, v25
	v_pk_fma_f32 v[18:19], v[18:19], s[0:1], v[28:29] op_sel:[0,0,1] op_sel_hi:[1,1,0] neg_lo:[0,0,1] neg_hi:[0,0,1]
	v_sub_f32_e32 v21, v23, v0
	v_add_f32_e32 v23, v23, v0
	v_add_f32_e32 v22, v24, v4
	v_sub_f32_e32 v20, v24, v4
	v_pk_add_f32 v[24:25], v[26:27], v[18:19]
	global_store_dwordx2 v[2:3], v[22:23], off offset:1904
	global_store_dwordx2 v[2:3], v[24:25], off offset:3808
	v_add_co_u32_e32 v22, vcc, s2, v2
	s_movk_i32 s2, 0x2000
	s_nop 0
	v_addc_co_u32_e32 v23, vcc, 0, v3, vcc
	global_store_dwordx2 v[22:23], v[8:9], off offset:1616
	global_store_dwordx2 v[22:23], v[20:21], off offset:3520
	v_pk_add_f32 v[8:9], v[26:27], v[18:19] neg_lo:[0,1] neg_hi:[0,1]
	v_add_co_u32_e32 v18, vcc, s2, v2
	v_mov_b32_e32 v4, v45
	s_nop 0
	v_addc_co_u32_e32 v19, vcc, 0, v3, vcc
	global_store_dwordx2 v[18:19], v[8:9], off offset:1328
	s_waitcnt vmcnt(6)
	v_pk_mul_f32 v[8:9], v[36:37], v[4:5] op_sel_hi:[1,0]
	v_mov_b32_e32 v4, v11
	v_pk_fma_f32 v[18:19], v[4:5], v[36:37], v[8:9] op_sel:[0,0,1] op_sel_hi:[1,1,0] neg_lo:[0,0,1] neg_hi:[0,0,1]
	v_pk_fma_f32 v[8:9], v[6:7], v[36:37], v[8:9] op_sel:[0,0,1] op_sel_hi:[0,1,0]
	v_mov_b32_e32 v4, v47
	v_mov_b32_e32 v19, v9
	v_pk_mul_f32 v[8:9], v[32:33], v[4:5] op_sel_hi:[1,0]
	v_mov_b32_e32 v4, v17
	v_mov_b32_e32 v6, v17
	v_pk_fma_f32 v[16:17], v[4:5], v[32:33], v[8:9] op_sel:[0,0,1] op_sel_hi:[1,1,0] neg_lo:[0,0,1] neg_hi:[0,0,1]
	v_pk_fma_f32 v[8:9], v[6:7], v[32:33], v[8:9] op_sel:[0,0,1] op_sel_hi:[0,1,0]
	v_mov_b32_e32 v4, v49
	v_mov_b32_e32 v17, v9
	v_pk_mul_f32 v[8:9], v[30:31], v[4:5] op_sel_hi:[1,0]
	v_mov_b32_e32 v4, v13
	;; [unrolled: 7-line block ×3, first 2 shown]
	v_mov_b32_e32 v6, v15
	v_pk_fma_f32 v[14:15], v[4:5], v[54:55], v[8:9] op_sel:[0,0,1] op_sel_hi:[1,1,0] neg_lo:[0,0,1] neg_hi:[0,0,1]
	v_pk_fma_f32 v[8:9], v[6:7], v[54:55], v[8:9] op_sel:[0,0,1] op_sel_hi:[0,1,0]
	v_mov_b32_e32 v15, v9
	v_pk_mul_f32 v[8:9], v[34:35], v[44:45] op_sel_hi:[1,0]
	s_mov_b32 s2, 0x44d72045
	v_pk_fma_f32 v[20:21], v[10:11], v[34:35], v[8:9] op_sel:[0,0,1] op_sel_hi:[1,1,0] neg_lo:[0,0,1] neg_hi:[0,0,1]
	v_pk_fma_f32 v[8:9], v[10:11], v[34:35], v[8:9] op_sel:[0,0,1] op_sel_hi:[0,1,0]
	v_mul_hi_u32 v0, v58, s2
	v_mov_b32_e32 v21, v9
	v_mov_b32_e32 v4, v7
	v_lshrrev_b32_e32 v0, 6, v0
	v_pk_add_f32 v[6:7], v[4:5], v[18:19]
	v_pk_add_f32 v[8:9], v[20:21], v[12:13]
	v_mul_u32_u24_e32 v0, 0x4a6, v0
	v_pk_add_f32 v[6:7], v[6:7], v[16:17]
	v_pk_add_f32 v[8:9], v[8:9], v[14:15]
	v_lshl_add_u64 v[0:1], v[0:1], 3, v[2:3]
	v_pk_add_f32 v[10:11], v[6:7], v[8:9]
	global_store_dwordx2 v[0:1], v[10:11], off offset:952
	v_pk_add_f32 v[10:11], v[12:13], v[14:15] neg_lo:[0,1] neg_hi:[0,1]
	v_pk_add_f32 v[12:13], v[12:13], v[14:15]
	s_mov_b64 s[2:3], 0x3b8
	v_pk_fma_f32 v[12:13], v[12:13], 0.5, v[20:21] op_sel_hi:[1,0,1] neg_lo:[1,0,0] neg_hi:[1,0,0]
	v_pk_add_f32 v[20:21], v[18:19], v[16:17]
	v_pk_add_f32 v[16:17], v[18:19], v[16:17] neg_lo:[0,1] neg_hi:[0,1]
	v_pk_fma_f32 v[4:5], v[20:21], 0.5, v[4:5] op_sel_hi:[1,0,1] neg_lo:[1,0,0] neg_hi:[1,0,0]
	v_pk_mul_f32 v[16:17], v[16:17], s[0:1] op_sel_hi:[1,0]
	v_pk_fma_f32 v[14:15], v[10:11], s[0:1], v[12:13] op_sel:[0,0,1] op_sel_hi:[1,0,0]
	v_pk_fma_f32 v[10:11], v[10:11], s[0:1], v[12:13] op_sel:[0,0,1] op_sel_hi:[1,0,0] neg_lo:[1,0,0] neg_hi:[1,0,0]
	v_pk_add_f32 v[18:19], v[4:5], v[16:17] op_sel:[0,1] op_sel_hi:[1,0] neg_lo:[0,1] neg_hi:[0,1]
	v_pk_add_f32 v[4:5], v[4:5], v[16:17] op_sel:[0,1] op_sel_hi:[1,0]
	v_mov_b32_e32 v12, v14
	v_mov_b32_e32 v13, v11
	;; [unrolled: 1-line block ×4, first 2 shown]
	v_mul_f32_e32 v5, 0xbf5db3d7, v15
	v_mul_f32_e32 v18, 0x3f5db3d7, v10
	v_pk_mul_f32 v[20:21], v[12:13], 0.5 op_sel_hi:[1,0]
	v_fmac_f32_e32 v5, 0.5, v10
	v_fmac_f32_e32 v18, 0.5, v15
	v_pk_fma_f32 v[12:13], v[12:13], s[0:1], v[20:21] op_sel:[0,0,1] op_sel_hi:[1,1,0] neg_lo:[0,0,1] neg_hi:[0,0,1]
	v_sub_f32_e32 v11, v19, v5
	v_sub_f32_e32 v10, v4, v18
	v_add_f32_e32 v5, v19, v5
	v_add_f32_e32 v4, v4, v18
	v_lshl_add_u64 v[2:3], v[0:1], 0, s[2:3]
	v_pk_add_f32 v[14:15], v[16:17], v[12:13]
	global_store_dwordx2 v[0:1], v[4:5], off offset:2856
	global_store_dwordx2 v[2:3], v[14:15], off offset:3808
	v_add_co_u32_e32 v4, vcc, 0x1000, v0
	v_pk_add_f32 v[2:3], v[6:7], v[8:9] neg_lo:[0,1] neg_hi:[0,1]
	s_nop 0
	v_addc_co_u32_e32 v5, vcc, 0, v1, vcc
	v_add_co_u32_e32 v0, vcc, 0x2000, v0
	global_store_dwordx2 v[4:5], v[2:3], off offset:2568
	s_nop 0
	v_addc_co_u32_e32 v1, vcc, 0, v1, vcc
	v_pk_add_f32 v[2:3], v[16:17], v[12:13] neg_lo:[0,1] neg_hi:[0,1]
	global_store_dwordx2 v[0:1], v[10:11], off offset:376
	global_store_dwordx2 v[0:1], v[2:3], off offset:2280
.LBB0_25:
	s_endpgm
	.section	.rodata,"a",@progbits
	.p2align	6, 0x0
	.amdhsa_kernel fft_rtc_fwd_len1428_factors_17_2_7_6_wgs_119_tpt_119_halfLds_sp_op_CI_CI_unitstride_sbrr_dirReg
		.amdhsa_group_segment_fixed_size 0
		.amdhsa_private_segment_fixed_size 0
		.amdhsa_kernarg_size 104
		.amdhsa_user_sgpr_count 2
		.amdhsa_user_sgpr_dispatch_ptr 0
		.amdhsa_user_sgpr_queue_ptr 0
		.amdhsa_user_sgpr_kernarg_segment_ptr 1
		.amdhsa_user_sgpr_dispatch_id 0
		.amdhsa_user_sgpr_kernarg_preload_length 0
		.amdhsa_user_sgpr_kernarg_preload_offset 0
		.amdhsa_user_sgpr_private_segment_size 0
		.amdhsa_uses_dynamic_stack 0
		.amdhsa_enable_private_segment 0
		.amdhsa_system_sgpr_workgroup_id_x 1
		.amdhsa_system_sgpr_workgroup_id_y 0
		.amdhsa_system_sgpr_workgroup_id_z 0
		.amdhsa_system_sgpr_workgroup_info 0
		.amdhsa_system_vgpr_workitem_id 0
		.amdhsa_next_free_vgpr 145
		.amdhsa_next_free_sgpr 76
		.amdhsa_accum_offset 148
		.amdhsa_reserve_vcc 1
		.amdhsa_float_round_mode_32 0
		.amdhsa_float_round_mode_16_64 0
		.amdhsa_float_denorm_mode_32 3
		.amdhsa_float_denorm_mode_16_64 3
		.amdhsa_dx10_clamp 1
		.amdhsa_ieee_mode 1
		.amdhsa_fp16_overflow 0
		.amdhsa_tg_split 0
		.amdhsa_exception_fp_ieee_invalid_op 0
		.amdhsa_exception_fp_denorm_src 0
		.amdhsa_exception_fp_ieee_div_zero 0
		.amdhsa_exception_fp_ieee_overflow 0
		.amdhsa_exception_fp_ieee_underflow 0
		.amdhsa_exception_fp_ieee_inexact 0
		.amdhsa_exception_int_div_zero 0
	.end_amdhsa_kernel
	.text
.Lfunc_end0:
	.size	fft_rtc_fwd_len1428_factors_17_2_7_6_wgs_119_tpt_119_halfLds_sp_op_CI_CI_unitstride_sbrr_dirReg, .Lfunc_end0-fft_rtc_fwd_len1428_factors_17_2_7_6_wgs_119_tpt_119_halfLds_sp_op_CI_CI_unitstride_sbrr_dirReg
                                        ; -- End function
	.section	.AMDGPU.csdata,"",@progbits
; Kernel info:
; codeLenInByte = 11044
; NumSgprs: 82
; NumVgprs: 145
; NumAgprs: 0
; TotalNumVgprs: 145
; ScratchSize: 0
; MemoryBound: 0
; FloatMode: 240
; IeeeMode: 1
; LDSByteSize: 0 bytes/workgroup (compile time only)
; SGPRBlocks: 10
; VGPRBlocks: 18
; NumSGPRsForWavesPerEU: 82
; NumVGPRsForWavesPerEU: 145
; AccumOffset: 148
; Occupancy: 3
; WaveLimiterHint : 1
; COMPUTE_PGM_RSRC2:SCRATCH_EN: 0
; COMPUTE_PGM_RSRC2:USER_SGPR: 2
; COMPUTE_PGM_RSRC2:TRAP_HANDLER: 0
; COMPUTE_PGM_RSRC2:TGID_X_EN: 1
; COMPUTE_PGM_RSRC2:TGID_Y_EN: 0
; COMPUTE_PGM_RSRC2:TGID_Z_EN: 0
; COMPUTE_PGM_RSRC2:TIDIG_COMP_CNT: 0
; COMPUTE_PGM_RSRC3_GFX90A:ACCUM_OFFSET: 36
; COMPUTE_PGM_RSRC3_GFX90A:TG_SPLIT: 0
	.text
	.p2alignl 6, 3212836864
	.fill 256, 4, 3212836864
	.type	__hip_cuid_412a7634013a7746,@object ; @__hip_cuid_412a7634013a7746
	.section	.bss,"aw",@nobits
	.globl	__hip_cuid_412a7634013a7746
__hip_cuid_412a7634013a7746:
	.byte	0                               ; 0x0
	.size	__hip_cuid_412a7634013a7746, 1

	.ident	"AMD clang version 19.0.0git (https://github.com/RadeonOpenCompute/llvm-project roc-6.4.0 25133 c7fe45cf4b819c5991fe208aaa96edf142730f1d)"
	.section	".note.GNU-stack","",@progbits
	.addrsig
	.addrsig_sym __hip_cuid_412a7634013a7746
	.amdgpu_metadata
---
amdhsa.kernels:
  - .agpr_count:     0
    .args:
      - .actual_access:  read_only
        .address_space:  global
        .offset:         0
        .size:           8
        .value_kind:     global_buffer
      - .offset:         8
        .size:           8
        .value_kind:     by_value
      - .actual_access:  read_only
        .address_space:  global
        .offset:         16
        .size:           8
        .value_kind:     global_buffer
      - .actual_access:  read_only
        .address_space:  global
        .offset:         24
        .size:           8
        .value_kind:     global_buffer
      - .actual_access:  read_only
        .address_space:  global
        .offset:         32
        .size:           8
        .value_kind:     global_buffer
      - .offset:         40
        .size:           8
        .value_kind:     by_value
      - .actual_access:  read_only
        .address_space:  global
        .offset:         48
        .size:           8
        .value_kind:     global_buffer
      - .actual_access:  read_only
        .address_space:  global
        .offset:         56
        .size:           8
        .value_kind:     global_buffer
      - .offset:         64
        .size:           4
        .value_kind:     by_value
      - .actual_access:  read_only
        .address_space:  global
        .offset:         72
        .size:           8
        .value_kind:     global_buffer
      - .actual_access:  read_only
        .address_space:  global
        .offset:         80
        .size:           8
        .value_kind:     global_buffer
      - .actual_access:  read_only
        .address_space:  global
        .offset:         88
        .size:           8
        .value_kind:     global_buffer
      - .actual_access:  write_only
        .address_space:  global
        .offset:         96
        .size:           8
        .value_kind:     global_buffer
    .group_segment_fixed_size: 0
    .kernarg_segment_align: 8
    .kernarg_segment_size: 104
    .language:       OpenCL C
    .language_version:
      - 2
      - 0
    .max_flat_workgroup_size: 119
    .name:           fft_rtc_fwd_len1428_factors_17_2_7_6_wgs_119_tpt_119_halfLds_sp_op_CI_CI_unitstride_sbrr_dirReg
    .private_segment_fixed_size: 0
    .sgpr_count:     82
    .sgpr_spill_count: 0
    .symbol:         fft_rtc_fwd_len1428_factors_17_2_7_6_wgs_119_tpt_119_halfLds_sp_op_CI_CI_unitstride_sbrr_dirReg.kd
    .uniform_work_group_size: 1
    .uses_dynamic_stack: false
    .vgpr_count:     145
    .vgpr_spill_count: 0
    .wavefront_size: 64
amdhsa.target:   amdgcn-amd-amdhsa--gfx950
amdhsa.version:
  - 1
  - 2
...

	.end_amdgpu_metadata
